;; amdgpu-corpus repo=zjin-lcf/HeCBench kind=compiled arch=gfx1250 opt=O3
	.amdgcn_target "amdgcn-amd-amdhsa--gfx1250"
	.amdhsa_code_object_version 6
	.text
	.protected	_Z8loss_bwdI6__halfS0_EvPKT_PKT0_S6_PKlS3_S8_PS4_ ; -- Begin function _Z8loss_bwdI6__halfS0_EvPKT_PKT0_S6_PKlS3_S8_PS4_
	.globl	_Z8loss_bwdI6__halfS0_EvPKT_PKT0_S6_PKlS3_S8_PS4_
	.p2align	8
	.type	_Z8loss_bwdI6__halfS0_EvPKT_PKT0_S6_PKlS3_S8_PS4_,@function
_Z8loss_bwdI6__halfS0_EvPKT_PKT0_S6_PKlS3_S8_PS4_: ; @_Z8loss_bwdI6__halfS0_EvPKT_PKT0_S6_PKlS3_S8_PS4_
; %bb.0:
	s_bfe_u32 s2, ttmp6, 0x4000c
	s_and_b32 s3, ttmp6, 15
	s_add_co_i32 s2, s2, 1
	s_delay_alu instid0(SALU_CYCLE_1) | instskip(SKIP_4) | instid1(SALU_CYCLE_1)
	s_mul_i32 s4, ttmp9, s2
	s_getreg_b32 s2, hwreg(HW_REG_IB_STS2, 6, 4)
	s_add_co_i32 s3, s3, s4
	s_cmp_eq_u32 s2, 0
	s_cselect_b32 s3, ttmp9, s3
	v_lshl_add_u32 v0, s3, 6, v0
	s_mov_b32 s3, exec_lo
	s_delay_alu instid0(VALU_DEP_1)
	v_cmpx_gt_i32_e32 0x221c, v0
	s_cbranch_execz .LBB0_4
; %bb.1:
	s_bfe_u32 s3, ttmp6, 0x40010
	s_load_b256 s[4:11], s[0:1], 0x18
	s_add_co_i32 s3, s3, 1
	s_bfe_u32 s12, ttmp6, 0x40004
	s_mul_i32 s3, ttmp7, s3
	s_delay_alu instid0(SALU_CYCLE_1)
	s_add_co_i32 s3, s12, s3
	s_load_b128 s[12:15], s[0:1], 0x0
	s_cmp_eq_u32 s2, 0
	s_cselect_b32 s2, ttmp7, s3
	s_mov_b32 s3, exec_lo
	v_mad_u32 v2, 0x221c, s2, v0
	s_wait_kmcnt 0x0
	s_clause 0x2
	global_load_b64 v[6:7], v2, s[8:9] scale_offset
	global_load_b64 v[0:1], v2, s[4:5] scale_offset
	global_load_u16 v4, v2, s[14:15] scale_offset
	v_ashrrev_i32_e32 v3, 31, v2
	s_wait_loadcnt 0x2
	s_wait_xcnt 0x0
	v_cmpx_ne_u64_e32 0, v[6:7]
	s_cbranch_execz .LBB0_3
; %bb.2:
	s_load_b64 s[0:1], s[0:1], 0x10
	s_wait_kmcnt 0x0
	v_lshl_add_u64 v[6:7], v[2:3], 1, s[0:1]
	s_wait_loadcnt 0x1
	global_load_u16 v1, v[6:7], off
	s_wait_loadcnt 0x0
	v_add_f16_e32 v4, v4, v1
.LBB0_3:
	s_or_b32 exec_lo, exec_lo, s3
	s_wait_loadcnt 0x1
	v_mad_u32 v1, 0xaa8c0, s2, v2
	v_lshl_add_u64 v[2:3], v[2:3], 1, s[6:7]
	v_cmp_eq_u32_e32 vcc_lo, 0, v0
	global_load_u16 v5, v[2:3], off
	s_clause 0x1a
	global_load_u16 v6, v1, s[12:13] scale_offset
	global_load_u16 v7, v1, s[12:13] offset:17464 scale_offset
	global_load_u16 v8, v1, s[12:13] offset:34928 scale_offset
	;; [unrolled: 1-line block ×13, first 2 shown]
	; meta instruction
	global_load_u16 v42, v1, s[12:13] offset:244496 scale_offset
	global_load_u16 v43, v1, s[12:13] offset:261960 scale_offset
	;; [unrolled: 1-line block ×13, first 2 shown]
	s_wait_xcnt 0x1b
	v_mad_u32 v2, 0x221c, v0, v1
	s_clause 0x18
	global_load_u16 v50, v2, s[12:13] scale_offset
	global_load_u16 v34, v1, s[12:13] offset:471528 scale_offset
	global_load_u16 v35, v1, s[12:13] offset:488992 scale_offset
	global_load_u16 v37, v1, s[12:13] offset:506456 scale_offset
	global_load_u16 v18, v1, s[12:13] offset:523920 scale_offset
	global_load_u16 v24, v1, s[12:13] offset:541384 scale_offset
	global_load_u16 v15, v1, s[12:13] offset:558848 scale_offset
	global_load_u16 v29, v1, s[12:13] offset:576312 scale_offset
	global_load_u16 v19, v1, s[12:13] offset:593776 scale_offset
	global_load_u16 v25, v1, s[12:13] offset:611240 scale_offset
	global_load_u16 v3, v1, s[12:13] offset:628704 scale_offset
	global_load_u16 v20, v1, s[12:13] offset:646168 scale_offset
	global_load_u16 v16, v1, s[12:13] offset:663632 scale_offset
	global_load_u16 v21, v1, s[12:13] offset:681096 scale_offset
	global_load_u16 v12, v1, s[12:13] offset:698560 scale_offset
	; meta instruction
	global_load_u16 v22, v1, s[12:13] offset:716024 scale_offset
	global_load_u16 v13, v1, s[12:13] offset:733488 scale_offset
	;; [unrolled: 1-line block ×10, first 2 shown]
	s_wait_loadcnt 0x34
	v_mul_f16_e64 v4, v5, -v4
	s_wait_loadcnt 0x33
	v_cvt_f32_f16_e32 v5, v6
	s_wait_loadcnt 0x32
	v_cvt_f32_f16_e32 v6, v7
	;; [unrolled: 2-line block ×5, first 2 shown]
	v_dual_mul_f32 v5, 0x3fb8aa3b, v5 :: v_dual_mul_f32 v6, 0x3fb8aa3b, v6
	s_delay_alu instid0(VALU_DEP_3)
	v_dual_mul_f32 v7, 0x3fb8aa3b, v7 :: v_dual_mul_f32 v8, 0x3fb8aa3b, v8
	s_wait_loadcnt 0x2e
	v_cvt_f32_f16_e32 v14, v28
	s_wait_loadcnt 0x2d
	v_cvt_f32_f16_e32 v28, v30
	;; [unrolled: 2-line block ×3, first 2 shown]
	v_exp_f32_e32 v7, v7
	s_wait_loadcnt 0x2b
	v_cvt_f32_f16_e32 v31, v32
	s_wait_loadcnt 0x2a
	v_cvt_f32_f16_e32 v32, v36
	;; [unrolled: 2-line block ×19, first 2 shown]
	v_exp_f32_e32 v55, v5
	s_wait_loadcnt 0x18
	v_nop
	v_mul_f16_e32 v5, v4, v50
	v_cvt_f16_f32_e32 v7, v7
	v_exp_f32_e32 v56, v6
	v_dual_mul_f32 v44, 0x3fb8aa3b, v44 :: v_dual_mul_f32 v51, 0x3fb8aa3b, v51
	s_delay_alu instid0(VALU_DEP_3) | instskip(NEXT) | instid1(VALU_DEP_3)
	v_cvt_f32_f16_e32 v6, v5
	v_cvt_f32_f16_e32 v58, v7
	v_dual_mul_f32 v46, 0x3fb8aa3b, v46 :: v_dual_mul_f32 v53, 0x3fb8aa3b, v53
	v_mul_f32_e32 v54, 0x3fb8aa3b, v54
	v_fma_mix_f32 v7, -v5, v7, v4 op_sel_hi:[1,1,1]
	s_delay_alu instid0(VALU_DEP_4) | instskip(SKIP_4) | instid1(VALU_DEP_2)
	v_mul_f32_e64 v58, v6, -v58
	v_mul_f32_e32 v52, 0x3fb8aa3b, v52
	v_exp_f32_e32 v50, v51
	v_dual_mul_f32 v9, 0x3fb8aa3b, v9 :: v_dual_mul_f32 v14, 0x3fb8aa3b, v14
	v_exp_f32_e32 v8, v8
	v_exp_f32_e32 v51, v52
	;; [unrolled: 1-line block ×4, first 2 shown]
	v_nop
	v_cvt_f16_f32_e32 v54, v55
	v_cvt_f16_f32_e32 v55, v56
	v_exp_f32_e32 v9, v9
	v_cvt_f16_f32_e32 v8, v8
	v_dual_mul_f32 v28, 0x3fb8aa3b, v28 :: v_dual_mul_f32 v31, 0x3fb8aa3b, v31
	v_cvt_f32_f16_e32 v56, v54
	v_fma_mix_f32 v54, -v5, v54, v4 op_sel_hi:[1,1,1]
	v_cvt_f32_f16_e32 v57, v55
	s_delay_alu instid0(TRANS32_DEP_1)
	v_cvt_f16_f32_e32 v9, v9
	v_fma_mix_f32 v55, -v5, v55, v4 op_sel_hi:[1,1,1]
	v_mul_f32_e64 v56, v6, -v56
	v_dual_mul_f32 v30, 0x3fb8aa3b, v30 :: v_dual_mul_f32 v39, 0x3fb8aa3b, v39
	v_mul_f32_e64 v57, v6, -v57
	v_exp_f32_e32 v14, v14
	s_delay_alu instid0(VALU_DEP_3)
	v_cndmask_b32_e32 v54, v56, v54, vcc_lo
	v_cmp_eq_u32_e32 vcc_lo, 1, v0
	v_mul_f32_e32 v48, 0x3fb8aa3b, v48
	v_cvt_f32_f16_e32 v56, v8
	v_exp_f32_e32 v28, v28
	v_exp_f32_e32 v30, v30
	v_cndmask_b32_e32 v55, v57, v55, vcc_lo
	v_cvt_f32_f16_e32 v57, v9
	v_cmp_eq_u32_e32 vcc_lo, 2, v0
	v_cvt_f16_f32_e32 v14, v14
	v_fma_mix_f32 v8, -v5, v8, v4 op_sel_hi:[1,1,1]
	s_delay_alu instid0(VALU_DEP_4)
	v_dual_mul_f32 v56, v6, -v56 :: v_dual_mul_f32 v57, v6, -v57
	v_cndmask_b32_e32 v7, v58, v7, vcc_lo
	v_cmp_eq_u32_e32 vcc_lo, 3, v0
	v_dual_mul_f32 v32, 0x3fb8aa3b, v32 :: v_dual_mul_f32 v41, 0x3fb8aa3b, v41
	v_cvt_f16_f32_e32 v28, v28
	v_cvt_f16_f32_e32 v30, v30
	v_fma_mix_f32 v9, -v5, v9, v4 op_sel_hi:[1,1,1]
	v_cvt_f32_f16_e32 v58, v14
	v_cndmask_b32_e32 v8, v56, v8, vcc_lo
	v_cmp_eq_u32_e32 vcc_lo, 4, v0
	v_exp_f32_e32 v31, v31
	v_exp_f32_e32 v32, v32
	v_fma_mix_f32 v14, -v5, v14, v4 op_sel_hi:[1,1,1]
	v_cvt_f32_f16_e32 v56, v28
	v_dual_mul_f32 v58, v6, -v58 :: v_dual_cndmask_b32 v57, v57, v9, vcc_lo
	v_cvt_f32_f16_e32 v9, v30
	v_cmp_eq_u32_e32 vcc_lo, 5, v0
	v_dual_mul_f32 v36, 0x3fb8aa3b, v36 :: v_dual_mul_f32 v43, 0x3fb8aa3b, v43
	v_cvt_f16_f32_e32 v31, v31
	v_cvt_f16_f32_e32 v32, v32
	v_fma_mix_f32 v28, -v5, v28, v4 op_sel_hi:[1,1,1]
	v_dual_mul_f32 v56, v6, -v56 :: v_dual_mul_f32 v9, v6, -v9
	v_cndmask_b32_e32 v58, v58, v14, vcc_lo
	v_cmp_eq_u32_e32 vcc_lo, 6, v0
	v_dual_mul_f32 v38, 0x3fb8aa3b, v38 :: v_dual_mul_f32 v45, 0x3fb8aa3b, v45
	v_exp_f32_e32 v36, v36
	v_fma_mix_f32 v30, -v5, v30, v4 op_sel_hi:[1,1,1]
	v_cvt_f32_f16_e32 v14, v31
	v_cndmask_b32_e32 v56, v56, v28, vcc_lo
	v_cvt_f32_f16_e32 v28, v32
	v_cmp_eq_u32_e32 vcc_lo, 7, v0
	v_exp_f32_e32 v38, v38
	v_exp_f32_e32 v39, v39
	v_cvt_f16_f32_e32 v36, v36
	v_fma_mix_f32 v31, -v5, v31, v4 op_sel_hi:[1,1,1]
	v_dual_mul_f32 v14, v6, -v14 :: v_dual_mul_f32 v28, v6, -v28
	v_cndmask_b32_e32 v59, v9, v30, vcc_lo
	v_cmp_eq_u32_e32 vcc_lo, 8, v0
	v_dual_mul_f32 v40, 0x3fb8aa3b, v40 :: v_dual_mul_f32 v47, 0x3fb8aa3b, v47
	v_cvt_f16_f32_e32 v38, v38
	v_cvt_f16_f32_e32 v39, v39
	v_fma_mix_f32 v32, -v5, v32, v4 op_sel_hi:[1,1,1]
	v_cvt_f32_f16_e32 v9, v36
	v_fma_mix_f32 v30, -v5, v36, v4 op_sel_hi:[1,1,1]
	v_cndmask_b32_e32 v36, v14, v31, vcc_lo
	v_cmp_eq_u32_e32 vcc_lo, 9, v0
	v_dual_mul_f32 v42, 0x3fb8aa3b, v42 :: v_dual_mul_f32 v49, 0x3fb8aa3b, v49
	v_exp_f32_e32 v40, v40
	v_cvt_f32_f16_e32 v14, v38
	v_fma_mix_f32 v31, -v5, v38, v4 op_sel_hi:[1,1,1]
	v_dual_mul_f32 v9, v6, -v9 :: v_dual_cndmask_b32 v38, v28, v32, vcc_lo
	v_cvt_f32_f16_e32 v28, v39
	v_cmp_eq_u32_e32 vcc_lo, 10, v0
	v_exp_f32_e32 v41, v41
	v_exp_f32_e32 v42, v42
	v_cvt_f16_f32_e32 v40, v40
	v_fma_mix_f32 v32, -v5, v39, v4 op_sel_hi:[1,1,1]
	v_dual_mul_f32 v14, v6, -v14 :: v_dual_mul_f32 v28, v6, -v28
	v_cndmask_b32_e32 v39, v9, v30, vcc_lo
	v_cmp_eq_u32_e32 vcc_lo, 11, v0
	v_cvt_f16_f32_e32 v41, v41
	v_cvt_f16_f32_e32 v42, v42
	v_cvt_f32_f16_e32 v9, v40
	v_fma_mix_f32 v30, -v5, v40, v4 op_sel_hi:[1,1,1]
	v_cndmask_b32_e32 v40, v14, v31, vcc_lo
	v_cmp_eq_u32_e32 vcc_lo, 12, v0
	v_exp_f32_e32 v43, v43
	v_cvt_f32_f16_e32 v14, v41
	v_fma_mix_f32 v31, -v5, v41, v4 op_sel_hi:[1,1,1]
	v_dual_mul_f32 v9, v6, -v9 :: v_dual_cndmask_b32 v41, v28, v32, vcc_lo
	v_cvt_f32_f16_e32 v28, v42
	v_cmp_eq_u32_e32 vcc_lo, 13, v0
	v_exp_f32_e32 v44, v44
	v_exp_f32_e32 v45, v45
	v_cvt_f16_f32_e32 v43, v43
	v_fma_mix_f32 v32, -v5, v42, v4 op_sel_hi:[1,1,1]
	v_dual_mul_f32 v14, v6, -v14 :: v_dual_mul_f32 v28, v6, -v28
	v_cndmask_b32_e32 v42, v9, v30, vcc_lo
	v_cmp_eq_u32_e32 vcc_lo, 14, v0
	v_cvt_f16_f32_e32 v44, v44
	v_cvt_f16_f32_e32 v45, v45
	v_cvt_f32_f16_e32 v9, v43
	v_fma_mix_f32 v30, -v5, v43, v4 op_sel_hi:[1,1,1]
	v_cndmask_b32_e32 v43, v14, v31, vcc_lo
	v_cmp_eq_u32_e32 vcc_lo, 15, v0
	;; [unrolled: 19-line block ×3, first 2 shown]
	v_exp_f32_e32 v49, v49
	v_cvt_f32_f16_e32 v14, v47
	v_fma_mix_f32 v31, -v5, v47, v4 op_sel_hi:[1,1,1]
	v_dual_mul_f32 v9, v6, -v9 :: v_dual_cndmask_b32 v47, v28, v32, vcc_lo
	v_cvt_f32_f16_e32 v28, v48
	v_cmp_eq_u32_e32 vcc_lo, 19, v0
	s_delay_alu instid0(TRANS32_DEP_1) | instskip(SKIP_1) | instid1(VALU_DEP_4)
	v_cvt_f16_f32_e32 v49, v49
	v_fma_mix_f32 v32, -v5, v48, v4 op_sel_hi:[1,1,1]
	v_dual_mul_f32 v14, v6, -v14 :: v_dual_mul_f32 v28, v6, -v28
	v_cndmask_b32_e32 v48, v9, v30, vcc_lo
	v_cmp_eq_u32_e32 vcc_lo, 20, v0
	v_cvt_f16_f32_e32 v50, v50
	v_cvt_f16_f32_e32 v51, v51
	v_cvt_f32_f16_e32 v9, v49
	v_fma_mix_f32 v30, -v5, v49, v4 op_sel_hi:[1,1,1]
	v_cndmask_b32_e32 v49, v14, v31, vcc_lo
	v_cmp_eq_u32_e32 vcc_lo, 21, v0
	v_cvt_f32_f16_e32 v14, v50
	v_mul_f32_e64 v9, v6, -v9
	v_cvt_f16_f32_e32 v52, v52
	v_fma_mix_f32 v31, -v5, v50, v4 op_sel_hi:[1,1,1]
	v_cndmask_b32_e32 v60, v28, v32, vcc_lo
	v_cvt_f32_f16_e32 v28, v51
	v_cmp_eq_u32_e32 vcc_lo, 22, v0
	v_mul_f32_e64 v14, v6, -v14
	v_fma_mix_f32 v32, -v5, v51, v4 op_sel_hi:[1,1,1]
	v_cvt_f16_f32_e32 v7, v7
	v_dual_mul_f32 v28, v6, -v28 :: v_dual_cndmask_b32 v50, v9, v30, vcc_lo
	v_cmp_eq_u32_e32 vcc_lo, 23, v0
	v_cvt_f32_f16_e32 v9, v52
	s_wait_loadcnt 0x15
	v_cvt_f32_f16_e32 v37, v37
	v_cvt_f16_f32_e32 v8, v8
	v_cvt_f16_f32_e32 v56, v56
	v_cndmask_b32_e32 v51, v14, v31, vcc_lo
	v_cmp_eq_u32_e32 vcc_lo, 24, v0
	v_cvt_f32_f16_e32 v14, v34
	v_mul_f32_e64 v9, v6, -v9
	v_cvt_f32_f16_e32 v34, v35
	v_cvt_f16_f32_e32 v31, v53
	v_cndmask_b32_e32 v61, v28, v32, vcc_lo
	v_fma_mix_f32 v28, -v5, v52, v4 op_sel_hi:[1,1,1]
	v_cmp_eq_u32_e32 vcc_lo, 25, v0
	v_mul_f32_e32 v14, 0x3fb8aa3b, v14
	s_clause 0x1
	global_load_u16 v32, v1, s[12:13] offset:873200 scale_offset
	global_load_u16 v30, v1, s[12:13] offset:890664 scale_offset
	v_dual_mul_f32 v34, 0x3fb8aa3b, v34 :: v_dual_mul_f32 v37, 0x3fb8aa3b, v37
	v_cndmask_b32_e32 v35, v9, v28, vcc_lo
	v_exp_f32_e32 v52, v14
	v_cvt_f32_f16_e32 v9, v31
	v_cvt_f16_f32_e32 v28, v54
	v_fma_mix_f32 v14, -v5, v31, v4 op_sel_hi:[1,1,1]
	v_cvt_f16_f32_e32 v31, v55
	v_cmp_eq_u32_e32 vcc_lo, 26, v0
	s_clause 0x2
	global_store_b16 v1, v28, s[10:11] scale_offset
	global_store_b16 v1, v31, s[10:11] offset:17464 scale_offset
	global_store_b16 v1, v7, s[10:11] offset:34928 scale_offset
	v_cvt_f16_f32_e32 v52, v52
	v_exp_f32_e32 v34, v34
	s_wait_xcnt 0x0
	v_cvt_f16_f32_e32 v7, v57
	v_cvt_f16_f32_e32 v54, v58
	v_exp_f32_e32 v37, v37
	v_cvt_f32_f16_e32 v55, v52
	v_mul_f32_e64 v9, v6, -v9
	v_fma_mix_f32 v52, -v5, v52, v4 op_sel_hi:[1,1,1]
	v_cvt_f16_f32_e32 v34, v34
	v_cvt_f16_f32_e32 v36, v36
	;; [unrolled: 1-line block ×3, first 2 shown]
	v_cndmask_b32_e32 v53, v9, v14, vcc_lo
	s_clause 0x6
	global_load_u16 v31, v1, s[12:13] offset:908128 scale_offset
	global_load_u16 v28, v1, s[12:13] offset:925592 scale_offset
	global_load_u16 v14, v1, s[12:13] offset:943056 scale_offset
	global_load_u16 v9, v1, s[12:13] offset:960520 scale_offset
	global_store_b16 v1, v8, s[10:11] offset:52392 scale_offset
	global_store_b16 v1, v7, s[10:11] offset:69856 scale_offset
	;; [unrolled: 1-line block ×3, first 2 shown]
	s_wait_xcnt 0x0
	v_mul_f32_e64 v54, v6, -v55
	v_cvt_f16_f32_e32 v55, v59
	v_cvt_f16_f32_e32 v39, v39
	s_clause 0x1
	global_load_u16 v8, v1, s[12:13] offset:977984 scale_offset
	global_load_u16 v7, v1, s[12:13] offset:995448 scale_offset
	v_cvt_f16_f32_e32 v40, v40
	v_cvt_f16_f32_e32 v41, v41
	;; [unrolled: 1-line block ×13, first 2 shown]
	s_clause 0x11
	global_store_b16 v1, v56, s[10:11] offset:104784 scale_offset
	global_store_b16 v1, v55, s[10:11] offset:122248 scale_offset
	;; [unrolled: 1-line block ×18, first 2 shown]
	s_wait_loadcnt 0x1c
	v_cvt_f32_f16_e32 v18, v18
	v_cmp_eq_u32_e32 vcc_lo, 27, v0
	s_wait_xcnt 0xe
	v_cvt_f32_f16_e32 v38, v34
	v_cvt_f16_f32_e32 v37, v37
	s_wait_loadcnt 0x1b
	v_cvt_f32_f16_e32 v24, v24
	v_cvt_f16_f32_e32 v59, v35
	v_dual_cndmask_b32 v35, v54, v52 :: v_dual_mul_f32 v18, 0x3fb8aa3b, v18
	v_fma_mix_f32 v34, -v5, v34, v4 op_sel_hi:[1,1,1]
	s_wait_xcnt 0xd
	v_cvt_f32_f16_e32 v39, v37
	v_mul_f32_e64 v38, v6, -v38
	s_wait_xcnt 0xb
	v_mul_f32_e32 v41, 0x3fb8aa3b, v24
	v_cmp_eq_u32_e32 vcc_lo, 28, v0
	v_exp_f32_e32 v40, v18
	v_fma_mix_f32 v37, -v5, v37, v4 op_sel_hi:[1,1,1]
	v_mul_f32_e64 v39, v6, -v39
	s_wait_loadcnt 0x19
	v_cvt_f32_f16_e32 v29, v29
	v_cndmask_b32_e32 v34, v38, v34, vcc_lo
	v_exp_f32_e32 v38, v41
	v_cmp_eq_u32_e32 vcc_lo, 29, v0
	v_cvt_f16_f32_e32 v41, v35
	s_wait_loadcnt 0x18
	v_cvt_f32_f16_e32 v19, v19
	s_clause 0x1
	global_load_u16 v18, v1, s[12:13] offset:1012912 scale_offset
	global_load_u16 v24, v1, s[12:13] offset:1030376 scale_offset
	v_cvt_f32_f16_e32 v15, v15
	v_cndmask_b32_e32 v35, v39, v37, vcc_lo
	s_wait_xcnt 0xc
	v_cvt_f16_f32_e32 v42, v34
	v_cvt_f16_f32_e32 v34, v40
	;; [unrolled: 1-line block ×3, first 2 shown]
	v_cmp_eq_u32_e32 vcc_lo, 30, v0
	v_mul_f32_e32 v19, 0x3fb8aa3b, v19
	v_cvt_f16_f32_e32 v58, v61
	v_cvt_f32_f16_e32 v38, v34
	v_fma_mix_f32 v39, -v5, v34, v4 op_sel_hi:[1,1,1]
	v_cvt_f32_f16_e32 v34, v37
	v_fma_mix_f32 v37, -v5, v37, v4 op_sel_hi:[1,1,1]
	s_wait_xcnt 0x9
	v_exp_f32_e32 v45, v19
	v_cvt_f16_f32_e32 v36, v53
	s_wait_loadcnt 0x19
	v_cvt_f32_f16_e32 v25, v25
	v_mul_f32_e64 v40, v6, -v34
	v_mul_f32_e64 v38, v6, -v38
	v_mul_f32_e32 v29, 0x3fb8aa3b, v29
	s_wait_loadcnt 0x18
	v_cvt_f32_f16_e32 v3, v3
	s_wait_loadcnt 0x13
	v_cvt_f32_f16_e32 v22, v22
	v_cvt_f32_f16_e32 v16, v16
	v_cndmask_b32_e32 v38, v38, v39, vcc_lo
	v_exp_f32_e32 v43, v29
	v_cmp_eq_u32_e32 vcc_lo, 31, v0
	s_clause 0x1
	global_load_u16 v29, v1, s[12:13] offset:1047840 scale_offset
	global_load_u16 v34, v1, s[12:13] offset:1065304 scale_offset
	v_cvt_f16_f32_e32 v39, v35
	s_clause 0x1
	global_load_u16 v35, v1, s[12:13] offset:1082768 scale_offset
	global_load_u16 v19, v1, s[12:13] offset:1100232 scale_offset
	v_cndmask_b32_e32 v37, v40, v37, vcc_lo
	v_cvt_f16_f32_e32 v40, v43
	v_cmp_eq_u32_e32 vcc_lo, 32, v0
	v_cvt_f16_f32_e32 v38, v38
	v_dual_mul_f32 v3, 0x3fb8aa3b, v3 :: v_dual_mul_f32 v22, 0x3fb8aa3b, v22
	s_delay_alu instid0(VALU_DEP_4) | instskip(SKIP_2) | instid1(VALU_DEP_4)
	v_cvt_f32_f16_e32 v44, v40
	v_fma_mix_f32 v40, -v5, v40, v4 op_sel_hi:[1,1,1]
	v_cvt_f16_f32_e32 v37, v37
	v_exp_f32_e32 v3, v3
	v_cvt_f32_f16_e32 v21, v21
	v_mul_f32_e64 v44, v6, -v44
	v_mul_f32_e32 v15, 0x3fb8aa3b, v15
	s_wait_loadcnt 0x15
	v_cvt_f32_f16_e32 v10, v10
	v_cvt_f32_f16_e32 v13, v13
	s_wait_loadcnt 0x14
	v_cvt_f32_f16_e32 v2, v2
	v_cvt_f16_f32_e32 v3, v3
	v_exp_f32_e32 v15, v15
	v_mul_f32_e32 v10, 0x3fb8aa3b, v10
	s_wait_loadcnt 0x13
	v_cvt_f32_f16_e32 v26, v26
	s_wait_loadcnt 0x11
	v_cvt_f32_f16_e32 v23, v23
	v_cvt_f32_f16_e32 v17, v17
	v_mul_f32_e32 v2, 0x3fb8aa3b, v2
	v_exp_f32_e32 v10, v10
	v_cvt_f16_f32_e32 v15, v15
	s_wait_loadcnt 0xf
	v_cvt_f32_f16_e32 v27, v27
	s_delay_alu instid0(VALU_DEP_2) | instskip(SKIP_1) | instid1(VALU_DEP_2)
	v_cvt_f32_f16_e32 v43, v15
	v_fma_mix_f32 v15, -v5, v15, v4 op_sel_hi:[1,1,1]
	v_mul_f32_e64 v43, v6, -v43
	s_delay_alu instid0(VALU_DEP_1)
	v_cndmask_b32_e32 v43, v43, v15, vcc_lo
	global_load_u16 v15, v1, s[12:13] offset:1117696 scale_offset
	v_cmp_eq_u32_e32 vcc_lo, 33, v0
	s_clause 0x7
	global_store_b16 v1, v58, s[10:11] offset:419136 scale_offset
	global_store_b16 v1, v59, s[10:11] offset:436600 scale_offset
	;; [unrolled: 1-line block ×8, first 2 shown]
	s_wait_xcnt 0x0
	v_cvt_f16_f32_e32 v37, v43
	v_cndmask_b32_e32 v40, v44, v40, vcc_lo
	v_cvt_f16_f32_e32 v44, v45
	v_cmp_eq_u32_e32 vcc_lo, 34, v0
	s_delay_alu instid0(VALU_DEP_3) | instskip(NEXT) | instid1(VALU_DEP_3)
	v_cvt_f16_f32_e32 v38, v40
	v_cvt_f32_f16_e32 v36, v44
	v_fma_mix_f32 v39, -v5, v44, v4 op_sel_hi:[1,1,1]
	v_cvt_f32_f16_e32 v40, v20
	global_load_u16 v20, v1, s[12:13] offset:1135160 scale_offset
	v_mul_f32_e64 v36, v6, -v36
	v_dual_mul_f32 v25, 0x3fb8aa3b, v25 :: v_dual_mul_f32 v40, 0x3fb8aa3b, v40
	s_delay_alu instid0(VALU_DEP_2) | instskip(NEXT) | instid1(VALU_DEP_2)
	v_cndmask_b32_e32 v36, v36, v39, vcc_lo
	v_exp_f32_e32 v25, v25
	s_delay_alu instid0(VALU_DEP_2) | instskip(SKIP_1) | instid1(VALU_DEP_2)
	v_exp_f32_e32 v40, v40
	v_cmp_eq_u32_e32 vcc_lo, 35, v0
	v_cvt_f16_f32_e32 v42, v36
	s_delay_alu instid0(TRANS32_DEP_2) | instskip(NEXT) | instid1(TRANS32_DEP_1)
	v_cvt_f16_f32_e32 v25, v25
	v_cvt_f16_f32_e32 v40, v40
	s_delay_alu instid0(VALU_DEP_2) | instskip(SKIP_4) | instid1(VALU_DEP_1)
	v_cvt_f32_f16_e32 v41, v25
	v_fma_mix_f32 v39, -v5, v25, v4 op_sel_hi:[1,1,1]
	global_load_u16 v25, v1, s[12:13] offset:1152624 scale_offset
	v_cvt_f32_f16_e32 v43, v40
	v_mul_f32_e64 v41, v6, -v41
	v_dual_cndmask_b32 v36, v41, v39 :: v_dual_mul_f32 v41, 0x3fb8aa3b, v16
	v_cvt_f32_f16_e32 v39, v3
	v_fma_mix_f32 v3, -v5, v3, v4 op_sel_hi:[1,1,1]
	v_cmp_eq_u32_e32 vcc_lo, 36, v0
	global_load_u16 v16, v1, s[12:13] offset:1170088 scale_offset
	v_exp_f32_e32 v41, v41
	v_mul_f32_e64 v39, v6, -v39
	s_delay_alu instid0(VALU_DEP_1)
	v_cndmask_b32_e32 v3, v39, v3, vcc_lo
	v_fma_mix_f32 v39, -v5, v40, v4 op_sel_hi:[1,1,1]
	v_mul_f32_e64 v40, v6, -v43
	v_cmp_eq_u32_e32 vcc_lo, 37, v0
	v_mul_f32_e32 v21, 0x3fb8aa3b, v21
	v_cvt_f16_f32_e32 v43, v36
	v_cvt_f16_f32_e32 v41, v41
	v_cndmask_b32_e32 v36, v40, v39, vcc_lo
	s_delay_alu instid0(VALU_DEP_4) | instskip(SKIP_1) | instid1(VALU_DEP_3)
	v_exp_f32_e32 v21, v21
	v_cmp_eq_u32_e32 vcc_lo, 38, v0
	v_cvt_f32_f16_e32 v39, v41
	s_delay_alu instid0(VALU_DEP_3) | instskip(SKIP_1) | instid1(TRANS32_DEP_1)
	v_cvt_f16_f32_e32 v44, v36
	v_fma_mix_f32 v36, -v5, v41, v4 op_sel_hi:[1,1,1]
	v_cvt_f16_f32_e32 v40, v21
	v_cvt_f32_f16_e32 v21, v12
	global_load_u16 v12, v1, s[12:13] offset:1187552 scale_offset
	v_mul_f32_e64 v39, v6, -v39
	v_cvt_f32_f16_e32 v41, v40
	v_mul_f32_e32 v45, 0x3fb8aa3b, v21
	global_load_u16 v21, v1, s[12:13] offset:1205016 scale_offset
	v_fma_mix_f32 v40, -v5, v40, v4 op_sel_hi:[1,1,1]
	v_dual_cndmask_b32 v36, v39, v36, vcc_lo :: v_dual_mul_f32 v41, v6, -v41
	v_cmp_eq_u32_e32 vcc_lo, 39, v0
	v_exp_f32_e32 v45, v45
	v_cvt_f16_f32_e32 v3, v3
	s_delay_alu instid0(VALU_DEP_3) | instskip(SKIP_2) | instid1(TRANS32_DEP_2)
	v_cndmask_b32_e32 v39, v41, v40, vcc_lo
	v_exp_f32_e32 v40, v22
	v_cmp_eq_u32_e32 vcc_lo, 40, v0
	v_cvt_f16_f32_e32 v41, v45
	v_cvt_f16_f32_e32 v45, v36
	;; [unrolled: 1-line block ×3, first 2 shown]
	s_clause 0x9
	global_load_u16 v22, v1, s[12:13] offset:1222480 scale_offset
	global_load_u16 v36, v1, s[12:13] offset:1239944 scale_offset
	global_store_b16 v1, v37, s[10:11] offset:558848 scale_offset
	global_store_b16 v1, v38, s[10:11] offset:576312 scale_offset
	;; [unrolled: 1-line block ×8, first 2 shown]
	s_wait_xcnt 0x0
	v_mul_f32_e32 v39, 0x3fb8aa3b, v13
	v_cvt_f32_f16_e32 v46, v41
	v_cvt_f16_f32_e32 v40, v40
	v_fma_mix_f32 v3, -v5, v41, v4 op_sel_hi:[1,1,1]
	global_load_u16 v13, v1, s[12:13] offset:1257408 scale_offset
	v_exp_f32_e32 v39, v39
	v_mul_f32_e64 v37, v6, -v46
	v_cvt_f32_f16_e32 v38, v40
	v_fma_mix_f32 v40, -v5, v40, v4 op_sel_hi:[1,1,1]
	v_cvt_f16_f32_e32 v41, v10
	s_delay_alu instid0(VALU_DEP_4) | instskip(NEXT) | instid1(VALU_DEP_4)
	v_dual_mul_f32 v10, 0x3fb8aa3b, v26 :: v_dual_cndmask_b32 v37, v37, v3
	v_mul_f32_e64 v38, v6, -v38
	v_cmp_eq_u32_e32 vcc_lo, 41, v0
	v_cvt_f16_f32_e32 v39, v39
	v_exp_f32_e32 v42, v2
	v_exp_f32_e32 v43, v10
	global_load_u16 v3, v1, s[12:13] offset:1274872 scale_offset
	v_cndmask_b32_e32 v38, v38, v40, vcc_lo
	v_cvt_f32_f16_e32 v40, v39
	v_fma_mix_f32 v26, -v5, v39, v4 op_sel_hi:[1,1,1]
	v_cmp_eq_u32_e32 vcc_lo, 42, v0
	v_cvt_f32_f16_e32 v44, v11
	v_mul_f32_e32 v17, 0x3fb8aa3b, v17
	v_mul_f32_e64 v39, v6, -v40
	v_cvt_f32_f16_e32 v40, v41
	s_clause 0x1
	global_load_u16 v2, v1, s[12:13] offset:1292336 scale_offset
	global_load_u16 v10, v1, s[12:13] offset:1309800 scale_offset
	v_mul_f32_e32 v44, 0x3fb8aa3b, v44
	v_exp_f32_e32 v17, v17
	global_load_u16 v11, v1, s[12:13] offset:1344728 scale_offset
	v_dual_mul_f32 v40, v6, -v40 :: v_dual_cndmask_b32 v26, v39, v26, vcc_lo
	v_fma_mix_f32 v39, -v5, v41, v4 op_sel_hi:[1,1,1]
	v_cvt_f16_f32_e32 v41, v42
	v_cvt_f16_f32_e32 v42, v43
	v_cmp_eq_u32_e32 vcc_lo, 43, v0
	v_exp_f32_e32 v44, v44
	v_cvt_f16_f32_e32 v37, v37
	v_cvt_f16_f32_e32 v38, v38
	v_cvt_f32_f16_e32 v43, v42
	v_cndmask_b32_e32 v39, v40, v39, vcc_lo
	v_cvt_f32_f16_e32 v40, v41
	v_fma_mix_f32 v41, -v5, v41, v4 op_sel_hi:[1,1,1]
	v_cmp_eq_u32_e32 vcc_lo, 44, v0
	v_mul_f32_e64 v43, v6, -v43
	v_fma_mix_f32 v42, -v5, v42, v4 op_sel_hi:[1,1,1]
	v_mul_f32_e64 v40, v6, -v40
	v_mul_f32_e32 v23, 0x3fb8aa3b, v23
	v_cvt_f16_f32_e32 v44, v44
	v_cvt_f16_f32_e32 v39, v39
	s_delay_alu instid0(VALU_DEP_4) | instskip(NEXT) | instid1(VALU_DEP_4)
	v_cndmask_b32_e32 v40, v40, v41, vcc_lo
	v_exp_f32_e32 v23, v23
	v_cmp_eq_u32_e32 vcc_lo, 45, v0
	s_delay_alu instid0(VALU_DEP_2) | instskip(NEXT) | instid1(TRANS32_DEP_1)
	v_cvt_f16_f32_e32 v40, v40
	v_cvt_f16_f32_e32 v23, v23
	s_delay_alu instid0(VALU_DEP_1)
	v_cvt_f32_f16_e32 v45, v23
	v_cndmask_b32_e32 v41, v43, v42, vcc_lo
	v_cvt_f16_f32_e32 v42, v17
	v_cvt_f16_f32_e32 v43, v26
	v_cmp_eq_u32_e32 vcc_lo, 46, v0
	global_load_u16 v17, v1, s[12:13] offset:1327264 scale_offset
	v_fma_mix_f32 v46, -v5, v23, v4 op_sel_hi:[1,1,1]
	v_cvt_f32_f16_e32 v26, v42
	v_fma_mix_f32 v42, -v5, v42, v4 op_sel_hi:[1,1,1]
	v_mul_f32_e32 v27, 0x3fb8aa3b, v27
	global_load_u16 v23, v1, s[12:13] offset:1362192 scale_offset
	v_mul_f32_e64 v45, v6, -v45
	v_cvt_f16_f32_e32 v41, v41
	v_exp_f32_e32 v27, v27
	v_nop
	s_delay_alu instid0(TRANS32_DEP_1)
	v_cvt_f16_f32_e32 v27, v27
	s_wait_loadcnt 0x1c
	v_cvt_f32_f16_e32 v32, v32
	s_wait_loadcnt 0x1b
	v_cvt_f32_f16_e32 v30, v30
	v_cvt_f32_f16_e32 v47, v27
	v_mul_f32_e64 v26, v6, -v26
	v_mul_f32_e32 v32, 0x3fb8aa3b, v32
	v_fma_mix_f32 v27, -v5, v27, v4 op_sel_hi:[1,1,1]
	s_delay_alu instid0(VALU_DEP_4) | instskip(NEXT) | instid1(VALU_DEP_4)
	v_mul_f32_e64 v47, v6, -v47
	v_cndmask_b32_e32 v42, v26, v42, vcc_lo
	v_cmp_eq_u32_e32 vcc_lo, 47, v0
	global_load_u16 v26, v1, s[12:13] offset:1379656 scale_offset
	v_exp_f32_e32 v32, v32
	v_cvt_f16_f32_e32 v42, v42
	v_cndmask_b32_e32 v45, v45, v46, vcc_lo
	v_cvt_f32_f16_e32 v46, v44
	v_fma_mix_f32 v44, -v5, v44, v4 op_sel_hi:[1,1,1]
	v_cmp_eq_u32_e32 vcc_lo, 48, v0
	s_delay_alu instid0(TRANS32_DEP_1)
	v_cvt_f16_f32_e32 v32, v32
	v_cvt_f16_f32_e32 v45, v45
	s_wait_loadcnt 0x1b
	v_cvt_f32_f16_e32 v31, v31
	v_mul_f32_e32 v30, 0x3fb8aa3b, v30
	v_mul_f32_e64 v46, v6, -v46
	s_clause 0x7
	global_store_b16 v1, v37, s[10:11] offset:698560 scale_offset
	global_store_b16 v1, v38, s[10:11] offset:716024 scale_offset
	;; [unrolled: 1-line block ×8, first 2 shown]
	s_wait_xcnt 0x6
	v_cvt_f32_f16_e32 v38, v32
	v_mul_f32_e32 v31, 0x3fb8aa3b, v31
	v_exp_f32_e32 v30, v30
	s_wait_loadcnt 0x18
	v_cvt_f32_f16_e32 v9, v9
	v_cndmask_b32_e32 v44, v46, v44, vcc_lo
	v_cmp_eq_u32_e32 vcc_lo, 49, v0
	v_exp_f32_e32 v31, v31
	v_fma_mix_f32 v32, -v5, v32, v4 op_sel_hi:[1,1,1]
	v_mul_f32_e64 v38, v6, -v38
	v_cvt_f16_f32_e32 v30, v30
	v_cndmask_b32_e32 v27, v47, v27, vcc_lo
	v_cmp_eq_u32_e32 vcc_lo, 50, v0
	v_cvt_f32_f16_e32 v28, v28
	v_cvt_f16_f32_e32 v31, v31
	s_wait_xcnt 0x4
	v_cvt_f32_f16_e32 v39, v30
	v_fma_mix_f32 v30, -v5, v30, v4 op_sel_hi:[1,1,1]
	v_cndmask_b32_e32 v32, v38, v32, vcc_lo
	v_cmp_eq_u32_e32 vcc_lo, 51, v0
	v_cvt_f32_f16_e32 v14, v14
	v_mul_f32_e64 v38, v6, -v39
	s_wait_loadcnt 0x16
	v_cvt_f32_f16_e32 v7, v7
	v_mul_f32_e32 v9, 0x3fb8aa3b, v9
	v_cvt_f32_f16_e32 v8, v8
	v_mul_f32_e32 v14, 0x3fb8aa3b, v14
	v_cndmask_b32_e32 v30, v38, v30, vcc_lo
	v_cvt_f32_f16_e32 v38, v31
	v_fma_mix_f32 v31, -v5, v31, v4 op_sel_hi:[1,1,1]
	v_cmp_eq_u32_e32 vcc_lo, 52, v0
	v_mul_f32_e32 v7, 0x3fb8aa3b, v7
	v_exp_f32_e32 v14, v14
	v_mul_f32_e64 v38, v6, -v38
	v_mul_f32_e32 v28, 0x3fb8aa3b, v28
	v_exp_f32_e32 v9, v9
	v_exp_f32_e32 v7, v7
	v_cvt_f16_f32_e32 v37, v44
	v_cndmask_b32_e32 v31, v38, v31, vcc_lo
	v_exp_f32_e32 v28, v28
	v_cvt_f16_f32_e32 v14, v14
	v_cmp_eq_u32_e32 vcc_lo, 53, v0
	v_cvt_f16_f32_e32 v9, v9
	v_cvt_f16_f32_e32 v7, v7
	s_wait_loadcnt 0x15
	v_cvt_f32_f16_e32 v18, v18
	s_wait_loadcnt 0x14
	v_cvt_f32_f16_e32 v24, v24
	v_cvt_f16_f32_e32 v28, v28
	v_cvt_f16_f32_e32 v27, v27
	;; [unrolled: 1-line block ×3, first 2 shown]
	v_mul_f32_e32 v18, 0x3fb8aa3b, v18
	v_cvt_f16_f32_e32 v30, v30
	v_cvt_f32_f16_e32 v39, v28
	v_fma_mix_f32 v28, -v5, v28, v4 op_sel_hi:[1,1,1]
	v_cvt_f16_f32_e32 v31, v31
	v_exp_f32_e32 v18, v18
	s_delay_alu instid0(VALU_DEP_3) | instskip(SKIP_2) | instid1(VALU_DEP_3)
	v_mul_f32_e64 v38, v6, -v39
	v_cvt_f32_f16_e32 v39, v9
	v_fma_mix_f32 v9, -v5, v9, v4 op_sel_hi:[1,1,1]
	v_cndmask_b32_e32 v28, v38, v28, vcc_lo
	v_cvt_f32_f16_e32 v38, v14
	v_fma_mix_f32 v14, -v5, v14, v4 op_sel_hi:[1,1,1]
	v_cmp_eq_u32_e32 vcc_lo, 54, v0
	s_delay_alu instid0(VALU_DEP_3) | instskip(NEXT) | instid1(VALU_DEP_1)
	v_dual_mul_f32 v39, v6, -v39 :: v_dual_mul_f32 v38, v6, -v38
	v_cndmask_b32_e32 v14, v38, v14, vcc_lo
	v_cmp_eq_u32_e32 vcc_lo, 55, v0
	s_wait_loadcnt 0x10
	v_cvt_f32_f16_e32 v19, v19
	v_mul_f32_e32 v24, 0x3fb8aa3b, v24
	v_cvt_f16_f32_e32 v28, v28
	v_cvt_f16_f32_e32 v14, v14
	v_cndmask_b32_e32 v9, v39, v9, vcc_lo
	v_cvt_f32_f16_e32 v39, v7
	v_fma_mix_f32 v7, -v5, v7, v4 op_sel_hi:[1,1,1]
	v_mul_f32_e32 v19, 0x3fb8aa3b, v19
	v_exp_f32_e32 v24, v24
	v_cvt_f16_f32_e32 v9, v9
	v_mul_f32_e64 v39, v6, -v39
	v_mul_f32_e32 v8, 0x3fb8aa3b, v8
	s_clause 0x7
	global_store_b16 v1, v37, s[10:11] offset:838272 scale_offset
	global_store_b16 v1, v27, s[10:11] offset:855736 scale_offset
	;; [unrolled: 1-line block ×8, first 2 shown]
	s_wait_xcnt 0x0
	v_cvt_f16_f32_e32 v9, v18
	v_cmp_eq_u32_e32 vcc_lo, 56, v0
	v_cvt_f16_f32_e32 v14, v24
	v_exp_f32_e32 v8, v8
	v_cvt_f32_f16_e32 v18, v29
	v_cvt_f32_f16_e32 v27, v9
	v_fma_mix_f32 v9, -v5, v9, v4 op_sel_hi:[1,1,1]
	v_cvt_f32_f16_e32 v28, v14
	v_fma_mix_f32 v14, -v5, v14, v4 op_sel_hi:[1,1,1]
	v_cvt_f32_f16_e32 v24, v34
	v_cvt_f16_f32_e32 v8, v8
	s_delay_alu instid0(VALU_DEP_4) | instskip(SKIP_1) | instid1(VALU_DEP_2)
	v_dual_mul_f32 v27, v6, -v27 :: v_dual_mul_f32 v28, v6, -v28
	v_exp_f32_e32 v19, v19
	v_cvt_f32_f16_e32 v38, v8
	v_fma_mix_f32 v8, -v5, v8, v4 op_sel_hi:[1,1,1]
	s_delay_alu instid0(VALU_DEP_2) | instskip(NEXT) | instid1(TRANS32_DEP_1)
	v_mul_f32_e64 v38, v6, -v38
	v_cvt_f16_f32_e32 v19, v19
	s_delay_alu instid0(VALU_DEP_2)
	v_cndmask_b32_e32 v8, v38, v8, vcc_lo
	v_cmp_eq_u32_e32 vcc_lo, 57, v0
	s_wait_loadcnt 0xf
	v_cvt_f32_f16_e32 v15, v15
	v_dual_mul_f32 v18, 0x3fb8aa3b, v18 :: v_dual_cndmask_b32 v7, v39, v7
	v_cmp_eq_u32_e32 vcc_lo, 58, v0
	s_delay_alu instid0(VALU_DEP_3) | instskip(NEXT) | instid1(VALU_DEP_3)
	v_mul_f32_e32 v15, 0x3fb8aa3b, v15
	v_exp_f32_e32 v18, v18
	s_delay_alu instid0(VALU_DEP_3) | instskip(SKIP_4) | instid1(TRANS32_DEP_2)
	v_cvt_f16_f32_e32 v7, v7
	v_cndmask_b32_e32 v9, v27, v9, vcc_lo
	v_cvt_f32_f16_e32 v27, v35
	v_cmp_eq_u32_e32 vcc_lo, 59, v0
	v_exp_f32_e32 v15, v15
	v_cvt_f16_f32_e32 v18, v18
	s_wait_loadcnt 0xe
	v_cvt_f32_f16_e32 v20, v20
	v_dual_mul_f32 v27, 0x3fb8aa3b, v27 :: v_dual_cndmask_b32 v14, v28, v14
	v_cmp_eq_u32_e32 vcc_lo, 60, v0
	v_cvt_f32_f16_e32 v28, v18
	v_fma_mix_f32 v18, -v5, v18, v4 op_sel_hi:[1,1,1]
	s_delay_alu instid0(VALU_DEP_4)
	v_exp_f32_e32 v27, v27
	v_cvt_f16_f32_e32 v15, v15
	v_cvt_f16_f32_e32 v8, v8
	v_mul_f32_e64 v28, v6, -v28
	v_cvt_f16_f32_e32 v9, v9
	v_cvt_f16_f32_e32 v14, v14
	s_delay_alu instid0(TRANS32_DEP_1) | instskip(NEXT) | instid1(VALU_DEP_4)
	v_cvt_f16_f32_e32 v27, v27
	v_cndmask_b32_e32 v18, v28, v18, vcc_lo
	v_cmp_eq_u32_e32 vcc_lo, 61, v0
	s_delay_alu instid0(VALU_DEP_3) | instskip(SKIP_3) | instid1(VALU_DEP_3)
	v_cvt_f32_f16_e32 v28, v27
	v_fma_mix_f32 v27, -v5, v27, v4 op_sel_hi:[1,1,1]
	s_wait_loadcnt 0xd
	v_cvt_f32_f16_e32 v25, v25
	v_mul_f32_e64 v28, v6, -v28
	v_mul_f32_e32 v24, 0x3fb8aa3b, v24
	s_delay_alu instid0(VALU_DEP_1) | instskip(SKIP_2) | instid1(TRANS32_DEP_1)
	v_exp_f32_e32 v24, v24
	s_wait_loadcnt 0xc
	v_cvt_f32_f16_e32 v16, v16
	v_cvt_f16_f32_e32 v24, v24
	v_mul_f32_e32 v25, 0x3fb8aa3b, v25
	s_delay_alu instid0(VALU_DEP_2) | instskip(SKIP_1) | instid1(VALU_DEP_2)
	v_cvt_f32_f16_e32 v29, v24
	v_fma_mix_f32 v24, -v5, v24, v4 op_sel_hi:[1,1,1]
	v_mul_f32_e64 v29, v6, -v29
	s_delay_alu instid0(VALU_DEP_1)
	v_cndmask_b32_e32 v24, v29, v24, vcc_lo
	v_cvt_f32_f16_e32 v29, v19
	v_cmp_eq_u32_e32 vcc_lo, 62, v0
	v_fma_mix_f32 v19, -v5, v19, v4 op_sel_hi:[1,1,1]
	v_cvt_f16_f32_e32 v18, v18
	v_cvt_f16_f32_e32 v24, v24
	v_dual_mul_f32 v29, v6, -v29 :: v_dual_cndmask_b32 v27, v28, v27, vcc_lo
	v_cmp_eq_u32_e32 vcc_lo, 63, v0
	v_mul_f32_e32 v20, 0x3fb8aa3b, v20
	v_cvt_f32_f16_e32 v28, v15
	v_fma_mix_f32 v15, -v5, v15, v4 op_sel_hi:[1,1,1]
	v_cvt_f16_f32_e32 v27, v27
	v_cndmask_b32_e32 v19, v29, v19, vcc_lo
	v_exp_f32_e32 v20, v20
	v_cmp_eq_u32_e32 vcc_lo, 64, v0
	s_wait_loadcnt 0xb
	v_cvt_f32_f16_e32 v12, v12
	v_cvt_f16_f32_e32 v19, v19
	s_clause 0x7
	global_store_b16 v1, v8, s[10:11] offset:977984 scale_offset
	global_store_b16 v1, v7, s[10:11] offset:995448 scale_offset
	;; [unrolled: 1-line block ×8, first 2 shown]
	s_wait_xcnt 0x7
	v_mul_f32_e32 v8, 0x3fb8aa3b, v16
	v_cvt_f16_f32_e32 v20, v20
	v_exp_f32_e32 v25, v25
	v_mul_f32_e32 v12, 0x3fb8aa3b, v12
	s_delay_alu instid0(VALU_DEP_3)
	v_exp_f32_e32 v8, v8
	s_wait_xcnt 0x6
	v_cvt_f32_f16_e32 v7, v20
	v_mul_f32_e64 v28, v6, -v28
	v_exp_f32_e32 v12, v12
	s_wait_xcnt 0x5
	v_cvt_f16_f32_e32 v9, v25
	s_wait_loadcnt 0x8
	s_wait_xcnt 0x0
	v_cvt_f32_f16_e32 v19, v36
	v_mul_f32_e64 v7, v6, -v7
	v_cndmask_b32_e32 v15, v28, v15, vcc_lo
	v_cmp_eq_u32_e32 vcc_lo, 0x41, v0
	v_cvt_f32_f16_e32 v16, v9
	v_fma_mix_f32 v9, -v5, v9, v4 op_sel_hi:[1,1,1]
	v_cvt_f16_f32_e32 v8, v8
	v_cvt_f16_f32_e32 v14, v15
	v_fma_mix_f32 v15, -v5, v20, v4 op_sel_hi:[1,1,1]
	v_cvt_f16_f32_e32 v12, v12
	v_cvt_f32_f16_e32 v18, v22
	s_wait_loadcnt 0x7
	v_cvt_f32_f16_e32 v13, v13
	v_mul_f32_e32 v19, 0x3fb8aa3b, v19
	v_dual_cndmask_b32 v7, v7, v15, vcc_lo :: v_dual_mul_f32 v15, v6, -v16
	v_cvt_f32_f16_e32 v16, v21
	v_cmp_eq_u32_e32 vcc_lo, 0x42, v0
	s_delay_alu instid0(VALU_DEP_4)
	v_exp_f32_e32 v19, v19
	v_mul_f32_e32 v13, 0x3fb8aa3b, v13
	s_wait_loadcnt 0x6
	v_cvt_f32_f16_e32 v3, v3
	v_dual_mul_f32 v16, 0x3fb8aa3b, v16 :: v_dual_cndmask_b32 v9, v15, v9
	v_cvt_f32_f16_e32 v15, v8
	v_fma_mix_f32 v8, -v5, v8, v4 op_sel_hi:[1,1,1]
	v_cmp_eq_u32_e32 vcc_lo, 0x43, v0
	s_delay_alu instid0(VALU_DEP_4)
	v_exp_f32_e32 v16, v16
	v_cvt_f16_f32_e32 v19, v19
	v_exp_f32_e32 v13, v13
	s_wait_loadcnt 0x5
	v_cvt_f32_f16_e32 v2, v2
	v_mul_f32_e32 v3, 0x3fb8aa3b, v3
	s_wait_loadcnt 0x4
	v_cvt_f32_f16_e32 v10, v10
	v_cvt_f16_f32_e32 v7, v7
	v_cvt_f16_f32_e32 v16, v16
	v_mul_f32_e32 v2, 0x3fb8aa3b, v2
	v_cvt_f16_f32_e32 v13, v13
	v_exp_f32_e32 v3, v3
	v_cvt_f16_f32_e32 v9, v9
	v_cvt_f32_f16_e32 v20, v16
	v_mul_f32_e64 v15, v6, -v15
	v_exp_f32_e32 v2, v2
	s_wait_loadcnt 0x3
	v_cvt_f32_f16_e32 v11, v11
	v_cvt_f16_f32_e32 v3, v3
	v_cndmask_b32_e32 v8, v15, v8, vcc_lo
	v_cvt_f32_f16_e32 v15, v12
	v_fma_mix_f32 v12, -v5, v12, v4 op_sel_hi:[1,1,1]
	v_cmp_eq_u32_e32 vcc_lo, 0x44, v0
	v_cvt_f16_f32_e32 v2, v2
	v_cvt_f16_f32_e32 v8, v8
	v_mul_f32_e64 v15, v6, -v15
	s_delay_alu instid0(VALU_DEP_1)
	v_cndmask_b32_e32 v12, v15, v12, vcc_lo
	v_fma_mix_f32 v15, -v5, v16, v4 op_sel_hi:[1,1,1]
	v_mul_f32_e64 v16, v6, -v20
	v_cmp_eq_u32_e32 vcc_lo, 0x45, v0
	v_mul_f32_e32 v18, 0x3fb8aa3b, v18
	v_cvt_f32_f16_e32 v20, v19
	v_fma_mix_f32 v19, -v5, v19, v4 op_sel_hi:[1,1,1]
	v_cvt_f16_f32_e32 v12, v12
	v_cndmask_b32_e32 v15, v16, v15, vcc_lo
	v_exp_f32_e32 v18, v18
	v_cmp_eq_u32_e32 vcc_lo, 0x46, v0
	s_delay_alu instid0(VALU_DEP_2) | instskip(NEXT) | instid1(TRANS32_DEP_1)
	v_cvt_f16_f32_e32 v15, v15
	v_cvt_f16_f32_e32 v18, v18
	s_delay_alu instid0(VALU_DEP_1) | instskip(SKIP_1) | instid1(VALU_DEP_2)
	v_cvt_f32_f16_e32 v16, v18
	v_fma_mix_f32 v18, -v5, v18, v4 op_sel_hi:[1,1,1]
	v_mul_f32_e64 v16, v6, -v16
	s_delay_alu instid0(VALU_DEP_1) | instskip(SKIP_1) | instid1(VALU_DEP_2)
	v_dual_mul_f32 v20, v6, -v20 :: v_dual_cndmask_b32 v16, v16, v18, vcc_lo
	v_cmp_eq_u32_e32 vcc_lo, 0x47, v0
	v_cvt_f16_f32_e32 v16, v16
	s_delay_alu instid0(VALU_DEP_3)
	v_cndmask_b32_e32 v18, v20, v19, vcc_lo
	v_cvt_f32_f16_e32 v19, v13
	v_fma_mix_f32 v13, -v5, v13, v4 op_sel_hi:[1,1,1]
	v_cmp_eq_u32_e32 vcc_lo, 0x48, v0
	v_cvt_f32_f16_e32 v20, v3
	v_fma_mix_f32 v3, -v5, v3, v4 op_sel_hi:[1,1,1]
	v_mul_f32_e64 v19, v6, -v19
	v_mul_f32_e32 v10, 0x3fb8aa3b, v10
	v_cvt_f16_f32_e32 v18, v18
	s_clause 0x7
	global_store_b16 v1, v14, s[10:11] offset:1117696 scale_offset
	global_store_b16 v1, v7, s[10:11] offset:1135160 scale_offset
	;; [unrolled: 1-line block ×8, first 2 shown]
	s_wait_loadcnt 0x2
	s_wait_xcnt 0x5
	v_cvt_f32_f16_e32 v9, v17
	v_cndmask_b32_e32 v13, v19, v13, vcc_lo
	v_exp_f32_e32 v10, v10
	v_cmp_eq_u32_e32 vcc_lo, 0x49, v0
	v_cvt_f32_f16_e32 v14, v33
	s_delay_alu instid0(VALU_DEP_3) | instskip(SKIP_1) | instid1(TRANS32_DEP_1)
	v_cvt_f16_f32_e32 v7, v13
	s_wait_xcnt 0x4
	v_cvt_f16_f32_e32 v8, v10
	v_cvt_f32_f16_e32 v10, v2
	v_mul_f32_e64 v19, v6, -v20
	v_fma_mix_f32 v2, -v5, v2, v4 op_sel_hi:[1,1,1]
	s_wait_xcnt 0x3
	v_cvt_f32_f16_e32 v12, v8
	s_delay_alu instid0(VALU_DEP_3)
	v_dual_mul_f32 v10, v6, -v10 :: v_dual_cndmask_b32 v3, v19, v3, vcc_lo
	v_cmp_eq_u32_e32 vcc_lo, 0x4a, v0
	v_mul_f32_e32 v9, 0x3fb8aa3b, v9
	v_fma_mix_f32 v8, -v5, v8, v4 op_sel_hi:[1,1,1]
	v_mul_f32_e64 v12, v6, -v12
	v_cvt_f16_f32_e32 v3, v3
	v_cndmask_b32_e32 v2, v10, v2, vcc_lo
	v_exp_f32_e32 v9, v9
	v_mul_f32_e32 v10, 0x3fb8aa3b, v11
	v_cmp_eq_u32_e32 vcc_lo, 0x4b, v0
	s_wait_loadcnt 0x1
	v_cvt_f32_f16_e32 v11, v23
	v_cvt_f16_f32_e32 v2, v2
	s_delay_alu instid0(TRANS32_DEP_1) | instskip(NEXT) | instid1(VALU_DEP_3)
	v_cvt_f16_f32_e32 v9, v9
	v_mul_f32_e32 v11, 0x3fb8aa3b, v11
	v_exp_f32_e32 v10, v10
	s_delay_alu instid0(VALU_DEP_2)
	v_cvt_f32_f16_e32 v13, v9
	v_cndmask_b32_e32 v8, v12, v8, vcc_lo
	s_wait_loadcnt 0x0
	v_cvt_f32_f16_e32 v12, v26
	v_exp_f32_e32 v11, v11
	v_fma_mix_f32 v9, -v5, v9, v4 op_sel_hi:[1,1,1]
	v_mul_f32_e64 v13, v6, -v13
	v_cmp_eq_u32_e32 vcc_lo, 0x4c, v0
	v_mul_f32_e32 v12, 0x3fb8aa3b, v12
	v_cvt_f16_f32_e32 v10, v10
	v_cvt_f16_f32_e32 v8, v8
	;; [unrolled: 1-line block ×3, first 2 shown]
	v_cndmask_b32_e32 v9, v13, v9, vcc_lo
	v_exp_f32_e32 v12, v12
	s_wait_xcnt 0x2
	v_cvt_f32_f16_e32 v15, v10
	v_fma_mix_f32 v10, -v5, v10, v4 op_sel_hi:[1,1,1]
	v_cmp_eq_u32_e32 vcc_lo, 0x4d, v0
	s_delay_alu instid0(VALU_DEP_3) | instskip(NEXT) | instid1(TRANS32_DEP_1)
	v_mul_f32_e64 v13, v6, -v15
	v_cvt_f16_f32_e32 v12, v12
	v_cvt_f32_f16_e32 v15, v11
	v_fma_mix_f32 v11, -v5, v11, v4 op_sel_hi:[1,1,1]
	s_delay_alu instid0(VALU_DEP_2) | instskip(NEXT) | instid1(VALU_DEP_4)
	v_dual_mul_f32 v15, v6, -v15 :: v_dual_cndmask_b32 v10, v13, v10, vcc_lo
	v_cvt_f32_f16_e32 v13, v12
	v_fma_mix_f32 v12, -v5, v12, v4 op_sel_hi:[1,1,1]
	v_cmp_eq_u32_e32 vcc_lo, 0x4e, v0
	s_delay_alu instid0(VALU_DEP_3) | instskip(SKIP_1) | instid1(VALU_DEP_1)
	v_mul_f32_e64 v13, v6, -v13
	v_mul_f32_e32 v14, 0x3fb8aa3b, v14
	v_exp_f32_e32 v14, v14
	v_nop
	s_delay_alu instid0(TRANS32_DEP_1) | instskip(SKIP_1) | instid1(VALU_DEP_1)
	v_cvt_f16_f32_e32 v14, v14
	s_wait_xcnt 0x1
	v_cvt_f32_f16_e32 v16, v14
	v_fma_mix_f32 v4, -v5, v14, v4 op_sel_hi:[1,1,1]
	s_delay_alu instid0(VALU_DEP_2) | instskip(SKIP_1) | instid1(VALU_DEP_2)
	v_dual_mul_f32 v5, v6, -v16 :: v_dual_cndmask_b32 v6, v15, v11, vcc_lo
	v_cmp_eq_u32_e32 vcc_lo, 0x4f, v0
	v_cvt_f16_f32_e32 v6, v6
	v_cndmask_b32_e32 v11, v13, v12, vcc_lo
	v_cmp_eq_u32_e32 vcc_lo, 0x50, v0
	v_cndmask_b32_e32 v0, v5, v4, vcc_lo
	v_cvt_f16_f32_e32 v4, v9
	v_cvt_f16_f32_e32 v5, v10
	v_cvt_f16_f32_e32 v9, v11
	s_delay_alu instid0(VALU_DEP_4)
	v_cvt_f16_f32_e32 v0, v0
	s_clause 0x8
	global_store_b16 v1, v7, s[10:11] offset:1257408 scale_offset
	global_store_b16 v1, v3, s[10:11] offset:1274872 scale_offset
	;; [unrolled: 1-line block ×9, first 2 shown]
.LBB0_4:
	s_endpgm
	.section	.rodata,"a",@progbits
	.p2align	6, 0x0
	.amdhsa_kernel _Z8loss_bwdI6__halfS0_EvPKT_PKT0_S6_PKlS3_S8_PS4_
		.amdhsa_group_segment_fixed_size 0
		.amdhsa_private_segment_fixed_size 0
		.amdhsa_kernarg_size 56
		.amdhsa_user_sgpr_count 2
		.amdhsa_user_sgpr_dispatch_ptr 0
		.amdhsa_user_sgpr_queue_ptr 0
		.amdhsa_user_sgpr_kernarg_segment_ptr 1
		.amdhsa_user_sgpr_dispatch_id 0
		.amdhsa_user_sgpr_kernarg_preload_length 0
		.amdhsa_user_sgpr_kernarg_preload_offset 0
		.amdhsa_user_sgpr_private_segment_size 0
		.amdhsa_wavefront_size32 1
		.amdhsa_uses_dynamic_stack 0
		.amdhsa_enable_private_segment 0
		.amdhsa_system_sgpr_workgroup_id_x 1
		.amdhsa_system_sgpr_workgroup_id_y 1
		.amdhsa_system_sgpr_workgroup_id_z 0
		.amdhsa_system_sgpr_workgroup_info 0
		.amdhsa_system_vgpr_workitem_id 0
		.amdhsa_next_free_vgpr 62
		.amdhsa_next_free_sgpr 16
		.amdhsa_named_barrier_count 0
		.amdhsa_reserve_vcc 1
		.amdhsa_float_round_mode_32 0
		.amdhsa_float_round_mode_16_64 0
		.amdhsa_float_denorm_mode_32 3
		.amdhsa_float_denorm_mode_16_64 3
		.amdhsa_fp16_overflow 0
		.amdhsa_memory_ordered 1
		.amdhsa_forward_progress 1
		.amdhsa_inst_pref_size 56
		.amdhsa_round_robin_scheduling 0
		.amdhsa_exception_fp_ieee_invalid_op 0
		.amdhsa_exception_fp_denorm_src 0
		.amdhsa_exception_fp_ieee_div_zero 0
		.amdhsa_exception_fp_ieee_overflow 0
		.amdhsa_exception_fp_ieee_underflow 0
		.amdhsa_exception_fp_ieee_inexact 0
		.amdhsa_exception_int_div_zero 0
	.end_amdhsa_kernel
	.text
.Lfunc_end0:
	.size	_Z8loss_bwdI6__halfS0_EvPKT_PKT0_S6_PKlS3_S8_PS4_, .Lfunc_end0-_Z8loss_bwdI6__halfS0_EvPKT_PKT0_S6_PKlS3_S8_PS4_
                                        ; -- End function
	.set _Z8loss_bwdI6__halfS0_EvPKT_PKT0_S6_PKlS3_S8_PS4_.num_vgpr, 62
	.set _Z8loss_bwdI6__halfS0_EvPKT_PKT0_S6_PKlS3_S8_PS4_.num_agpr, 0
	.set _Z8loss_bwdI6__halfS0_EvPKT_PKT0_S6_PKlS3_S8_PS4_.numbered_sgpr, 16
	.set _Z8loss_bwdI6__halfS0_EvPKT_PKT0_S6_PKlS3_S8_PS4_.num_named_barrier, 0
	.set _Z8loss_bwdI6__halfS0_EvPKT_PKT0_S6_PKlS3_S8_PS4_.private_seg_size, 0
	.set _Z8loss_bwdI6__halfS0_EvPKT_PKT0_S6_PKlS3_S8_PS4_.uses_vcc, 1
	.set _Z8loss_bwdI6__halfS0_EvPKT_PKT0_S6_PKlS3_S8_PS4_.uses_flat_scratch, 0
	.set _Z8loss_bwdI6__halfS0_EvPKT_PKT0_S6_PKlS3_S8_PS4_.has_dyn_sized_stack, 0
	.set _Z8loss_bwdI6__halfS0_EvPKT_PKT0_S6_PKlS3_S8_PS4_.has_recursion, 0
	.set _Z8loss_bwdI6__halfS0_EvPKT_PKT0_S6_PKlS3_S8_PS4_.has_indirect_call, 0
	.section	.AMDGPU.csdata,"",@progbits
; Kernel info:
; codeLenInByte = 7116
; TotalNumSgprs: 18
; NumVgprs: 62
; ScratchSize: 0
; MemoryBound: 0
; FloatMode: 240
; IeeeMode: 1
; LDSByteSize: 0 bytes/workgroup (compile time only)
; SGPRBlocks: 0
; VGPRBlocks: 3
; NumSGPRsForWavesPerEU: 18
; NumVGPRsForWavesPerEU: 62
; NamedBarCnt: 0
; Occupancy: 16
; WaveLimiterHint : 1
; COMPUTE_PGM_RSRC2:SCRATCH_EN: 0
; COMPUTE_PGM_RSRC2:USER_SGPR: 2
; COMPUTE_PGM_RSRC2:TRAP_HANDLER: 0
; COMPUTE_PGM_RSRC2:TGID_X_EN: 1
; COMPUTE_PGM_RSRC2:TGID_Y_EN: 1
; COMPUTE_PGM_RSRC2:TGID_Z_EN: 0
; COMPUTE_PGM_RSRC2:TIDIG_COMP_CNT: 0
	.section	.text._Z8loss_bwdIffEvPKT_PKT0_S5_PKlS2_S7_PS3_,"axG",@progbits,_Z8loss_bwdIffEvPKT_PKT0_S5_PKlS2_S7_PS3_,comdat
	.protected	_Z8loss_bwdIffEvPKT_PKT0_S5_PKlS2_S7_PS3_ ; -- Begin function _Z8loss_bwdIffEvPKT_PKT0_S5_PKlS2_S7_PS3_
	.globl	_Z8loss_bwdIffEvPKT_PKT0_S5_PKlS2_S7_PS3_
	.p2align	8
	.type	_Z8loss_bwdIffEvPKT_PKT0_S5_PKlS2_S7_PS3_,@function
_Z8loss_bwdIffEvPKT_PKT0_S5_PKlS2_S7_PS3_: ; @_Z8loss_bwdIffEvPKT_PKT0_S5_PKlS2_S7_PS3_
; %bb.0:
	s_bfe_u32 s2, ttmp6, 0x4000c
	s_and_b32 s3, ttmp6, 15
	s_add_co_i32 s2, s2, 1
	s_delay_alu instid0(SALU_CYCLE_1) | instskip(SKIP_4) | instid1(SALU_CYCLE_1)
	s_mul_i32 s4, ttmp9, s2
	s_getreg_b32 s2, hwreg(HW_REG_IB_STS2, 6, 4)
	s_add_co_i32 s3, s3, s4
	s_cmp_eq_u32 s2, 0
	s_cselect_b32 s3, ttmp9, s3
	v_lshl_add_u32 v0, s3, 6, v0
	s_mov_b32 s3, exec_lo
	s_delay_alu instid0(VALU_DEP_1)
	v_cmpx_gt_i32_e32 0x221c, v0
	s_cbranch_execz .LBB1_4
; %bb.1:
	s_bfe_u32 s3, ttmp6, 0x40010
	s_load_b256 s[4:11], s[0:1], 0x18
	s_add_co_i32 s3, s3, 1
	s_bfe_u32 s12, ttmp6, 0x40004
	s_mul_i32 s3, ttmp7, s3
	s_delay_alu instid0(SALU_CYCLE_1)
	s_add_co_i32 s3, s12, s3
	s_load_b128 s[12:15], s[0:1], 0x0
	s_cmp_eq_u32 s2, 0
	s_cselect_b32 s2, ttmp7, s3
	s_mov_b32 s3, exec_lo
	v_mad_u32 v2, 0x221c, s2, v0
	s_wait_kmcnt 0x0
	s_clause 0x2
	global_load_b64 v[6:7], v2, s[8:9] scale_offset
	global_load_b64 v[0:1], v2, s[4:5] scale_offset
	global_load_b32 v4, v2, s[14:15] scale_offset
	v_ashrrev_i32_e32 v3, 31, v2
	s_wait_loadcnt 0x2
	s_wait_xcnt 0x0
	v_cmpx_ne_u64_e32 0, v[6:7]
	s_cbranch_execz .LBB1_3
; %bb.2:
	s_load_b64 s[0:1], s[0:1], 0x10
	s_wait_kmcnt 0x0
	v_lshl_add_u64 v[6:7], v[2:3], 2, s[0:1]
	s_wait_loadcnt 0x1
	global_load_b32 v1, v[6:7], off
	s_wait_loadcnt 0x0
	v_add_f32_e32 v4, v4, v1
.LBB1_3:
	s_or_b32 exec_lo, exec_lo, s3
	s_wait_loadcnt 0x1
	v_mad_u32 v1, 0xaa8c0, s2, v2
	v_lshl_add_u64 v[8:9], v[2:3], 2, s[6:7]
	v_cmp_eq_u32_e32 vcc_lo, 0, v0
	global_load_b32 v2, v[8:9], off
	s_clause 0x25
	global_load_b32 v3, v1, s[12:13] scale_offset
	global_load_b32 v5, v1, s[12:13] offset:34928 scale_offset
	global_load_b32 v6, v1, s[12:13] offset:69856 scale_offset
	;; [unrolled: 1-line block ×13, first 2 shown]
	; meta instruction
	global_load_b32 v33, v1, s[12:13] offset:488992 scale_offset
	global_load_b32 v34, v1, s[12:13] offset:523920 scale_offset
	;; [unrolled: 1-line block ×24, first 2 shown]
	v_mad_u32 v29, 0x221c, v0, v1
	s_clause 0x10
	global_load_b32 v52, v29, s[12:13] scale_offset
	global_load_b32 v8, v1, s[12:13] offset:1327264 scale_offset
	global_load_b32 v12, v1, s[12:13] offset:1362192 scale_offset
	;; [unrolled: 1-line block ×14, first 2 shown]
	; meta instruction
	global_load_b32 v29, v1, s[12:13] offset:2794240 scale_offset
	global_load_b32 v59, v1, s[12:13] offset:1921040 scale_offset
	s_wait_loadcnt 0x37
	v_mul_f32_e64 v2, v2, -v4
	s_wait_loadcnt 0x35
	v_dual_mul_f32 v3, 0x3fb8aa3b, v3 :: v_dual_mul_f32 v4, 0x3fb8aa3b, v5
	s_wait_loadcnt 0x33
	v_dual_mul_f32 v5, 0x3fb8aa3b, v6 :: v_dual_mul_f32 v6, 0x3fb8aa3b, v7
	s_wait_loadcnt 0x32
	v_mul_f32_e32 v7, 0x3fb8aa3b, v10
	s_wait_loadcnt 0x31
	v_mul_f32_e32 v10, 0x3fb8aa3b, v18
	s_wait_loadcnt 0x2f
	v_dual_mul_f32 v18, 0x3fb8aa3b, v23 :: v_dual_mul_f32 v23, 0x3fb8aa3b, v25
	s_wait_loadcnt 0x2d
	v_dual_mul_f32 v25, 0x3fb8aa3b, v26 :: v_dual_mul_f32 v26, 0x3fb8aa3b, v27
	;; [unrolled: 2-line block ×4, first 2 shown]
	v_exp_f32_e32 v4, v4
	s_wait_loadcnt 0x27
	v_dual_mul_f32 v32, 0x3fb8aa3b, v33 :: v_dual_mul_f32 v33, 0x3fb8aa3b, v34
	s_wait_loadcnt 0x25
	v_dual_mul_f32 v34, 0x3fb8aa3b, v35 :: v_dual_mul_f32 v35, 0x3fb8aa3b, v36
	;; [unrolled: 2-line block ×12, first 2 shown]
	v_exp_f32_e32 v57, v3
	s_wait_loadcnt 0x10
	v_nop
	v_mul_f32_e32 v3, v2, v52
	v_exp_f32_e32 v52, v53
	v_exp_f32_e32 v53, v54
	;; [unrolled: 1-line block ×5, first 2 shown]
	v_dual_fma_f32 v55, -v3, v57, v2 :: v_dual_mul_f32 v57, v3, -v57
	v_exp_f32_e32 v7, v7
	v_exp_f32_e32 v10, v10
	;; [unrolled: 1-line block ×4, first 2 shown]
	v_dual_cndmask_b32 v55, v57, v55, vcc_lo :: v_dual_fma_f32 v58, -v3, v4, v2
	v_dual_mul_f32 v4, v3, -v4 :: v_dual_fma_f32 v57, -v3, v5, v2
	v_cmp_eq_u32_e32 vcc_lo, 1, v0
	v_mul_f32_e64 v5, v3, -v5
	v_exp_f32_e32 v25, v25
	v_exp_f32_e32 v26, v26
	;; [unrolled: 1-line block ×3, first 2 shown]
	v_cndmask_b32_e32 v4, v4, v58, vcc_lo
	v_cmp_eq_u32_e32 vcc_lo, 2, v0
	v_dual_fma_f32 v58, -v3, v6, v2 :: v_dual_mul_f32 v6, v3, -v6
	v_exp_f32_e32 v28, v28
	v_exp_f32_e32 v30, v30
	v_dual_cndmask_b32 v5, v5, v57, vcc_lo :: v_dual_fma_f32 v57, -v3, v7, v2
	v_cmp_eq_u32_e32 vcc_lo, 3, v0
	v_mul_f32_e64 v7, v3, -v7
	v_exp_f32_e32 v31, v31
	v_exp_f32_e32 v32, v32
	;; [unrolled: 1-line block ×3, first 2 shown]
	v_cndmask_b32_e32 v6, v6, v58, vcc_lo
	v_cmp_eq_u32_e32 vcc_lo, 4, v0
	v_dual_fma_f32 v58, -v3, v10, v2 :: v_dual_mul_f32 v10, v3, -v10
	v_exp_f32_e32 v34, v34
	v_exp_f32_e32 v35, v35
	v_cndmask_b32_e32 v7, v7, v57, vcc_lo
	v_cmp_eq_u32_e32 vcc_lo, 5, v0
	v_dual_fma_f32 v57, -v3, v18, v2 :: v_dual_mul_f32 v18, v3, -v18
	v_exp_f32_e32 v36, v36
	v_exp_f32_e32 v37, v37
	;; [unrolled: 5-line block ×5, first 2 shown]
	v_dual_cndmask_b32 v25, v25, v57, vcc_lo :: v_dual_fma_f32 v57, -v3, v27, v2
	v_cmp_eq_u32_e32 vcc_lo, 9, v0
	v_mul_f32_e64 v27, v3, -v27
	v_exp_f32_e32 v44, v44
	v_exp_f32_e32 v45, v45
	;; [unrolled: 1-line block ×3, first 2 shown]
	v_cndmask_b32_e32 v26, v26, v58, vcc_lo
	v_cmp_eq_u32_e32 vcc_lo, 10, v0
	v_dual_fma_f32 v58, -v3, v28, v2 :: v_dual_mul_f32 v28, v3, -v28
	v_exp_f32_e32 v47, v47
	v_exp_f32_e32 v48, v48
	v_cndmask_b32_e32 v27, v27, v57, vcc_lo
	v_cmp_eq_u32_e32 vcc_lo, 11, v0
	v_dual_fma_f32 v57, -v3, v30, v2 :: v_dual_mul_f32 v30, v3, -v30
	v_exp_f32_e32 v49, v49
	v_exp_f32_e32 v50, v50
	v_cndmask_b32_e32 v28, v28, v58, vcc_lo
	v_cmp_eq_u32_e32 vcc_lo, 12, v0
	v_dual_fma_f32 v58, -v3, v31, v2 :: v_dual_mul_f32 v31, v3, -v31
	v_exp_f32_e32 v51, v51
	v_exp_f32_e32 v56, v56
	v_dual_cndmask_b32 v30, v30, v57, vcc_lo :: v_dual_fma_f32 v57, -v3, v32, v2
	v_cmp_eq_u32_e32 vcc_lo, 13, v0
	v_mul_f32_e64 v32, v3, -v32
	s_clause 0x2
	global_store_b32 v1, v55, s[10:11] scale_offset
	global_store_b32 v1, v4, s[10:11] offset:34928 scale_offset
	global_load_b32 v55, v1, s[12:13] offset:1886112 scale_offset
	v_cndmask_b32_e32 v31, v31, v58, vcc_lo
	v_cmp_eq_u32_e32 vcc_lo, 14, v0
	v_dual_fma_f32 v58, -v3, v33, v2 :: v_dual_mul_f32 v33, v3, -v33
	s_wait_loadcnt 0xe
	v_dual_mul_f32 v8, 0x3fb8aa3b, v8 :: v_dual_mul_f32 v19, 0x3fb8aa3b, v19
	v_cndmask_b32_e32 v32, v32, v57, vcc_lo
	v_cmp_eq_u32_e32 vcc_lo, 15, v0
	v_dual_fma_f32 v57, -v3, v34, v2 :: v_dual_mul_f32 v34, v3, -v34
	v_mul_f32_e32 v12, 0x3fb8aa3b, v12
	v_exp_f32_e32 v8, v8
	v_cndmask_b32_e32 v33, v33, v58, vcc_lo
	v_cmp_eq_u32_e32 vcc_lo, 16, v0
	v_dual_fma_f32 v58, -v3, v35, v2 :: v_dual_mul_f32 v35, v3, -v35
	v_exp_f32_e32 v12, v12
	s_wait_loadcnt 0xa
	v_dual_mul_f32 v24, 0x3fb8aa3b, v24 :: v_dual_mul_f32 v11, 0x3fb8aa3b, v11
	v_dual_cndmask_b32 v34, v34, v57, vcc_lo :: v_dual_fma_f32 v57, -v3, v36, v2
	v_cmp_eq_u32_e32 vcc_lo, 17, v0
	v_mul_f32_e64 v36, v3, -v36
	v_exp_f32_e32 v19, v19
	v_exp_f32_e32 v24, v24
	;; [unrolled: 1-line block ×3, first 2 shown]
	v_cndmask_b32_e32 v35, v35, v58, vcc_lo
	v_cmp_eq_u32_e32 vcc_lo, 18, v0
	v_dual_fma_f32 v58, -v3, v37, v2 :: v_dual_mul_f32 v37, v3, -v37
	s_wait_loadcnt 0x6
	v_dual_mul_f32 v16, 0x3fb8aa3b, v16 :: v_dual_mul_f32 v15, 0x3fb8aa3b, v15
	v_cndmask_b32_e32 v36, v36, v57, vcc_lo
	v_cmp_eq_u32_e32 vcc_lo, 19, v0
	v_dual_fma_f32 v57, -v3, v38, v2 :: v_dual_mul_f32 v38, v3, -v38
	s_delay_alu instid0(VALU_DEP_4)
	v_exp_f32_e32 v15, v15
	v_cndmask_b32_e32 v37, v37, v58, vcc_lo
	v_cmp_eq_u32_e32 vcc_lo, 20, v0
	v_dual_fma_f32 v58, -v3, v39, v2 :: v_dual_mul_f32 v39, v3, -v39
	v_dual_cndmask_b32 v38, v38, v57, vcc_lo :: v_dual_fma_f32 v57, -v3, v40, v2
	v_cmp_eq_u32_e32 vcc_lo, 21, v0
	v_mul_f32_e64 v40, v3, -v40
	s_delay_alu instid0(VALU_DEP_4) | instskip(SKIP_2) | instid1(VALU_DEP_4)
	v_cndmask_b32_e32 v39, v39, v58, vcc_lo
	v_cmp_eq_u32_e32 vcc_lo, 22, v0
	v_dual_fma_f32 v58, -v3, v41, v2 :: v_dual_mul_f32 v41, v3, -v41
	v_cndmask_b32_e32 v40, v40, v57, vcc_lo
	v_cmp_eq_u32_e32 vcc_lo, 23, v0
	v_dual_fma_f32 v57, -v3, v42, v2 :: v_dual_mul_f32 v42, v3, -v42
	s_delay_alu instid0(VALU_DEP_4) | instskip(SKIP_2) | instid1(VALU_DEP_4)
	v_cndmask_b32_e32 v41, v41, v58, vcc_lo
	v_cmp_eq_u32_e32 vcc_lo, 24, v0
	v_dual_fma_f32 v58, -v3, v43, v2 :: v_dual_mul_f32 v43, v3, -v43
	v_dual_cndmask_b32 v42, v42, v57, vcc_lo :: v_dual_fma_f32 v57, -v3, v44, v2
	v_cmp_eq_u32_e32 vcc_lo, 25, v0
	v_mul_f32_e64 v44, v3, -v44
	s_delay_alu instid0(VALU_DEP_4) | instskip(SKIP_2) | instid1(VALU_DEP_4)
	v_cndmask_b32_e32 v43, v43, v58, vcc_lo
	v_cmp_eq_u32_e32 vcc_lo, 26, v0
	v_dual_fma_f32 v58, -v3, v45, v2 :: v_dual_mul_f32 v45, v3, -v45
	v_cndmask_b32_e32 v44, v44, v57, vcc_lo
	v_cmp_eq_u32_e32 vcc_lo, 27, v0
	v_dual_fma_f32 v57, -v3, v46, v2 :: v_dual_mul_f32 v46, v3, -v46
	s_delay_alu instid0(VALU_DEP_4) | instskip(SKIP_2) | instid1(VALU_DEP_4)
	;; [unrolled: 14-line block ×4, first 2 shown]
	v_cndmask_b32_e32 v53, v53, v58, vcc_lo
	v_cmp_eq_u32_e32 vcc_lo, 36, v0
	v_dual_fma_f32 v58, -v3, v56, v2 :: v_dual_mul_f32 v56, v3, -v56
	v_cndmask_b32_e32 v54, v54, v57, vcc_lo
	global_load_b32 v57, v1, s[12:13] offset:1816256 scale_offset
	v_cmp_eq_u32_e32 vcc_lo, 37, v0
	v_cndmask_b32_e32 v56, v56, v58, vcc_lo
	s_clause 0x30
	global_load_b32 v58, v1, s[12:13] offset:1851184 scale_offset
	global_store_b32 v1, v5, s[10:11] offset:69856 scale_offset
	global_store_b32 v1, v6, s[10:11] offset:104784 scale_offset
	global_load_b32 v60, v1, s[12:13] offset:1955968 scale_offset
	global_load_b32 v61, v1, s[12:13] offset:1990896 scale_offset
	;; [unrolled: 1-line block ×5, first 2 shown]
	global_store_b32 v1, v7, s[10:11] offset:139712 scale_offset
	global_store_b32 v1, v10, s[10:11] offset:174640 scale_offset
	;; [unrolled: 1-line block ×6, first 2 shown]
	global_load_b32 v23, v1, s[12:13] offset:2130608 scale_offset
	global_load_b32 v25, v1, s[12:13] offset:2165536 scale_offset
	;; [unrolled: 1-line block ×3, first 2 shown]
	global_store_b32 v1, v27, s[10:11] offset:349280 scale_offset
	global_store_b32 v1, v28, s[10:11] offset:384208 scale_offset
	global_load_b32 v27, v1, s[12:13] offset:2235392 scale_offset
	global_load_b32 v28, v1, s[12:13] offset:2270320 scale_offset
	global_store_b32 v1, v30, s[10:11] offset:419136 scale_offset
	global_store_b32 v1, v31, s[10:11] offset:454064 scale_offset
	;; [unrolled: 1-line block ×6, first 2 shown]
	global_load_b32 v30, v1, s[12:13] offset:2305248 scale_offset
	global_load_b32 v31, v1, s[12:13] offset:2340176 scale_offset
	;; [unrolled: 1-line block ×6, first 2 shown]
	global_store_b32 v1, v36, s[10:11] offset:628704 scale_offset
	global_store_b32 v1, v37, s[10:11] offset:663632 scale_offset
	global_load_b32 v36, v1, s[12:13] offset:2514816 scale_offset
	global_load_b32 v37, v1, s[12:13] offset:2549744 scale_offset
	global_store_b32 v1, v38, s[10:11] offset:698560 scale_offset
	global_store_b32 v1, v39, s[10:11] offset:733488 scale_offset
	global_load_b32 v10, v1, s[12:13] offset:2584672 scale_offset
	global_load_b32 v18, v1, s[12:13] offset:2619600 scale_offset
	;; [unrolled: 1-line block ×4, first 2 shown]
	global_store_b32 v1, v40, s[10:11] offset:768416 scale_offset
	global_store_b32 v1, v41, s[10:11] offset:803344 scale_offset
	;; [unrolled: 1-line block ×4, first 2 shown]
	global_load_b32 v4, v1, s[12:13] offset:2724384 scale_offset
	global_load_b32 v5, v1, s[12:13] offset:2759312 scale_offset
	s_wait_xcnt 0xb
	v_dual_fma_f32 v38, -v3, v8, v2 :: v_dual_mul_f32 v8, v3, -v8
	v_cmp_eq_u32_e32 vcc_lo, 38, v0
	s_wait_xcnt 0xa
	v_dual_fma_f32 v39, -v3, v12, v2 :: v_dual_mul_f32 v12, v3, -v12
	s_clause 0x1
	global_store_b32 v1, v44, s[10:11] offset:908128 scale_offset
	global_store_b32 v1, v45, s[10:11] offset:943056 scale_offset
	v_cndmask_b32_e32 v8, v8, v38, vcc_lo
	v_cmp_eq_u32_e32 vcc_lo, 39, v0
	s_clause 0x3
	global_store_b32 v1, v46, s[10:11] offset:977984 scale_offset
	global_store_b32 v1, v47, s[10:11] offset:1012912 scale_offset
	global_store_b32 v1, v48, s[10:11] offset:1047840 scale_offset
	global_store_b32 v1, v49, s[10:11] offset:1082768 scale_offset
	v_cndmask_b32_e32 v12, v12, v39, vcc_lo
	s_clause 0x7
	global_store_b32 v1, v50, s[10:11] offset:1117696 scale_offset
	global_store_b32 v1, v51, s[10:11] offset:1152624 scale_offset
	;; [unrolled: 1-line block ×8, first 2 shown]
	s_wait_xcnt 0x1
	v_mul_f32_e32 v8, 0x3fb8aa3b, v9
	v_fma_f32 v9, -v3, v19, v2
	s_wait_xcnt 0x0
	v_mul_f32_e32 v12, 0x3fb8aa3b, v13
	v_mul_f32_e64 v13, v3, -v19
	v_cmp_eq_u32_e32 vcc_lo, 40, v0
	v_dual_fma_f32 v19, -v3, v24, v2 :: v_dual_mul_f32 v24, v3, -v24
	s_delay_alu instid0(VALU_DEP_4) | instskip(NEXT) | instid1(VALU_DEP_3)
	v_exp_f32_e32 v12, v12
	v_cndmask_b32_e32 v9, v13, v9, vcc_lo
	v_cmp_eq_u32_e32 vcc_lo, 41, v0
	s_delay_alu instid0(VALU_DEP_3) | instskip(SKIP_2) | instid1(TRANS32_DEP_2)
	v_cndmask_b32_e32 v13, v24, v19, vcc_lo
	v_exp_f32_e32 v8, v8
	v_cmp_eq_u32_e32 vcc_lo, 42, v0
	v_dual_fma_f32 v24, -v3, v12, v2 :: v_dual_mul_f32 v12, v3, -v12
	s_delay_alu instid0(TRANS32_DEP_1) | instskip(NEXT) | instid1(VALU_DEP_1)
	v_dual_fma_f32 v19, -v3, v8, v2 :: v_dual_mul_f32 v8, v3, -v8
	v_cndmask_b32_e32 v8, v8, v19, vcc_lo
	v_cmp_eq_u32_e32 vcc_lo, 43, v0
	v_dual_fma_f32 v19, -v3, v11, v2 :: v_dual_mul_f32 v11, v3, -v11
	v_cndmask_b32_e32 v12, v12, v24, vcc_lo
	v_cmp_eq_u32_e32 vcc_lo, 44, v0
	s_delay_alu instid0(VALU_DEP_3) | instskip(NEXT) | instid1(VALU_DEP_1)
	v_dual_mul_f32 v14, 0x3fb8aa3b, v14 :: v_dual_cndmask_b32 v11, v11, v19
	v_exp_f32_e32 v14, v14
	v_cmp_eq_u32_e32 vcc_lo, 45, v0
	v_dual_fma_f32 v19, -v3, v15, v2 :: v_dual_mul_f32 v15, v3, -v15
	s_delay_alu instid0(TRANS32_DEP_1) | instskip(NEXT) | instid1(VALU_DEP_1)
	v_dual_fma_f32 v24, -v3, v14, v2 :: v_dual_mul_f32 v14, v3, -v14
	v_cndmask_b32_e32 v14, v14, v24, vcc_lo
	v_cmp_eq_u32_e32 vcc_lo, 46, v0
	s_delay_alu instid0(VALU_DEP_4) | instskip(NEXT) | instid1(VALU_DEP_1)
	v_dual_mul_f32 v20, 0x3fb8aa3b, v20 :: v_dual_cndmask_b32 v15, v15, v19
	v_exp_f32_e32 v20, v20
	v_cmp_eq_u32_e32 vcc_lo, 47, v0
	s_delay_alu instid0(TRANS32_DEP_1) | instskip(SKIP_1) | instid1(VALU_DEP_1)
	v_dual_fma_f32 v24, -v3, v20, v2 :: v_dual_mul_f32 v20, v3, -v20
	s_wait_loadcnt 0x1f
	v_dual_mul_f32 v22, 0x3fb8aa3b, v22 :: v_dual_cndmask_b32 v19, v20, v24
	s_clause 0x7
	global_store_b32 v1, v9, s[10:11] offset:1397120 scale_offset
	global_store_b32 v1, v13, s[10:11] offset:1432048 scale_offset
	;; [unrolled: 1-line block ×8, first 2 shown]
	s_wait_loadcnt 0x1d
	s_wait_xcnt 0x3
	v_mul_f32_e32 v11, 0x3fb8aa3b, v21
	v_exp_f32_e32 v16, v16
	v_exp_f32_e32 v20, v22
	v_cmp_eq_u32_e32 vcc_lo, 48, v0
	s_delay_alu instid0(VALU_DEP_2) | instskip(NEXT) | instid1(TRANS32_DEP_3)
	v_exp_f32_e32 v11, v11
	v_dual_fma_f32 v9, -v3, v16, v2 :: v_dual_mul_f32 v12, v3, -v16
	s_wait_xcnt 0x2
	s_delay_alu instid0(TRANS32_DEP_2) | instskip(SKIP_1) | instid1(TRANS32_DEP_1)
	v_dual_fma_f32 v13, -v3, v20, v2 :: v_dual_mul_f32 v14, v3, -v20
	s_wait_xcnt 0x1
	v_dual_fma_f32 v15, -v3, v11, v2 :: v_dual_mul_f32 v11, v3, -v11
	v_mul_f32_e32 v8, 0x3fb8aa3b, v17
	v_cndmask_b32_e32 v9, v12, v9, vcc_lo
	v_cmp_eq_u32_e32 vcc_lo, 49, v0
	s_wait_loadcnt 0x1b
	v_mul_f32_e32 v17, 0x3fb8aa3b, v59
	v_exp_f32_e32 v8, v8
	v_cndmask_b32_e32 v12, v14, v13, vcc_lo
	v_cmp_eq_u32_e32 vcc_lo, 50, v0
	s_delay_alu instid0(VALU_DEP_3) | instskip(NEXT) | instid1(TRANS32_DEP_2)
	v_exp_f32_e32 v17, v17
	v_dual_fma_f32 v13, -v3, v8, v2 :: v_dual_mul_f32 v8, v3, -v8
	s_delay_alu instid0(VALU_DEP_1)
	v_cndmask_b32_e32 v8, v8, v13, vcc_lo
	v_cmp_eq_u32_e32 vcc_lo, 51, v0
	v_cndmask_b32_e32 v11, v11, v15, vcc_lo
	s_wait_loadcnt 0x1a
	v_mul_f32_e32 v15, 0x3fb8aa3b, v55
	v_cmp_eq_u32_e32 vcc_lo, 52, v0
	s_delay_alu instid0(VALU_DEP_2) | instskip(SKIP_2) | instid1(VALU_DEP_1)
	v_exp_f32_e32 v15, v15
	s_wait_loadcnt 0x19
	v_mul_f32_e32 v14, 0x3fb8aa3b, v57
	v_exp_f32_e32 v14, v14
	s_wait_loadcnt 0x18
	v_mul_f32_e32 v16, 0x3fb8aa3b, v58
	s_wait_loadcnt 0x16
	v_dual_mul_f32 v20, 0x3fb8aa3b, v60 :: v_dual_mul_f32 v21, 0x3fb8aa3b, v61
	s_delay_alu instid0(VALU_DEP_2) | instskip(NEXT) | instid1(TRANS32_DEP_2)
	v_exp_f32_e32 v13, v16
	v_dual_fma_f32 v16, -v3, v14, v2 :: v_dual_mul_f32 v14, v3, -v14
	s_wait_xcnt 0x0
	s_delay_alu instid0(TRANS32_DEP_1) | instskip(NEXT) | instid1(VALU_DEP_2)
	v_dual_fma_f32 v19, -v3, v13, v2 :: v_dual_mul_f32 v13, v3, -v13
	v_cndmask_b32_e32 v14, v14, v16, vcc_lo
	v_cmp_eq_u32_e32 vcc_lo, 53, v0
	v_dual_fma_f32 v16, -v3, v15, v2 :: v_dual_mul_f32 v15, v3, -v15
	s_delay_alu instid0(VALU_DEP_4) | instskip(SKIP_2) | instid1(VALU_DEP_4)
	v_cndmask_b32_e32 v13, v13, v19, vcc_lo
	v_cmp_eq_u32_e32 vcc_lo, 54, v0
	v_dual_fma_f32 v19, -v3, v17, v2 :: v_dual_mul_f32 v17, v3, -v17
	v_cndmask_b32_e32 v15, v15, v16, vcc_lo
	v_cmp_eq_u32_e32 vcc_lo, 55, v0
	s_delay_alu instid0(VALU_DEP_3)
	v_cndmask_b32_e32 v16, v17, v19, vcc_lo
	v_exp_f32_e32 v17, v20
	v_exp_f32_e32 v19, v21
	s_clause 0x7
	global_store_b32 v1, v9, s[10:11] offset:1676544 scale_offset
	global_store_b32 v1, v12, s[10:11] offset:1711472 scale_offset
	;; [unrolled: 1-line block ×8, first 2 shown]
	s_wait_loadcnt 0x14
	s_wait_xcnt 0x4
	v_dual_mul_f32 v8, 0x3fb8aa3b, v62 :: v_dual_mul_f32 v11, 0x3fb8aa3b, v63
	v_cmp_eq_u32_e32 vcc_lo, 56, v0
	s_wait_loadcnt 0x12
	s_wait_xcnt 0x0
	v_mul_f32_e32 v16, 0x3fb8aa3b, v23
	v_dual_fma_f32 v9, -v3, v17, v2 :: v_dual_mul_f32 v12, v3, -v17
	v_exp_f32_e32 v8, v8
	v_dual_fma_f32 v13, -v3, v19, v2 :: v_dual_mul_f32 v14, v3, -v19
	v_exp_f32_e32 v11, v11
	s_delay_alu instid0(VALU_DEP_2)
	v_cndmask_b32_e32 v9, v12, v9, vcc_lo
	v_cmp_eq_u32_e32 vcc_lo, 57, v0
	s_wait_loadcnt 0xe
	v_dual_mul_f32 v20, 0x3fb8aa3b, v27 :: v_dual_mul_f32 v21, 0x3fb8aa3b, v28
	s_wait_loadcnt 0x2
	v_dual_mul_f32 v7, 0x3fb8aa3b, v7 :: v_dual_mul_f32 v6, 0x3fb8aa3b, v6
	v_dual_cndmask_b32 v12, v14, v13, vcc_lo :: v_dual_fma_f32 v13, -v3, v8, v2
	v_mul_f32_e64 v8, v3, -v8
	v_cmp_eq_u32_e32 vcc_lo, 58, v0
	v_dual_fma_f32 v15, -v3, v11, v2 :: v_dual_mul_f32 v11, v3, -v11
	v_exp_f32_e32 v7, v7
	v_exp_f32_e32 v6, v6
	v_cndmask_b32_e32 v8, v8, v13, vcc_lo
	v_cmp_eq_u32_e32 vcc_lo, 59, v0
	v_mul_f32_e32 v14, 0x3fb8aa3b, v64
	s_wait_loadcnt 0x0
	v_dual_mul_f32 v4, 0x3fb8aa3b, v4 :: v_dual_mul_f32 v5, 0x3fb8aa3b, v5
	v_cndmask_b32_e32 v11, v11, v15, vcc_lo
	s_delay_alu instid0(VALU_DEP_3)
	v_exp_f32_e32 v14, v14
	v_mul_f32_e32 v15, 0x3fb8aa3b, v25
	v_exp_f32_e32 v13, v16
	v_cmp_eq_u32_e32 vcc_lo, 60, v0
	v_exp_f32_e32 v4, v4
	v_exp_f32_e32 v5, v5
	v_exp_f32_e32 v15, v15
	v_dual_fma_f32 v16, -v3, v14, v2 :: v_dual_mul_f32 v14, v3, -v14
	v_fma_f32 v19, -v3, v13, v2
	v_mul_f32_e32 v17, 0x3fb8aa3b, v26
	s_delay_alu instid0(VALU_DEP_3) | instskip(SKIP_1) | instid1(VALU_DEP_3)
	v_dual_mul_f32 v13, v3, -v13 :: v_dual_cndmask_b32 v14, v14, v16, vcc_lo
	v_cmp_eq_u32_e32 vcc_lo, 61, v0
	v_exp_f32_e32 v17, v17
	v_dual_fma_f32 v16, -v3, v15, v2 :: v_dual_mul_f32 v15, v3, -v15
	s_delay_alu instid0(VALU_DEP_3) | instskip(SKIP_1) | instid1(TRANS32_DEP_1)
	v_cndmask_b32_e32 v13, v13, v19, vcc_lo
	v_cmp_eq_u32_e32 vcc_lo, 62, v0
	v_dual_fma_f32 v19, -v3, v17, v2 :: v_dual_mul_f32 v17, v3, -v17
	s_delay_alu instid0(VALU_DEP_4) | instskip(SKIP_1) | instid1(VALU_DEP_3)
	v_cndmask_b32_e32 v15, v15, v16, vcc_lo
	v_cmp_eq_u32_e32 vcc_lo, 63, v0
	v_cndmask_b32_e32 v16, v17, v19, vcc_lo
	v_exp_f32_e32 v17, v20
	v_exp_f32_e32 v19, v21
	s_clause 0x7
	global_store_b32 v1, v9, s[10:11] offset:1955968 scale_offset
	global_store_b32 v1, v12, s[10:11] offset:1990896 scale_offset
	;; [unrolled: 1-line block ×8, first 2 shown]
	s_wait_xcnt 0x4
	v_dual_mul_f32 v8, 0x3fb8aa3b, v30 :: v_dual_mul_f32 v11, 0x3fb8aa3b, v31
	v_cmp_eq_u32_e32 vcc_lo, 64, v0
	s_wait_xcnt 0x0
	v_mul_f32_e32 v16, 0x3fb8aa3b, v33
	v_dual_fma_f32 v9, -v3, v17, v2 :: v_dual_mul_f32 v12, v3, -v17
	v_exp_f32_e32 v8, v8
	v_dual_fma_f32 v13, -v3, v19, v2 :: v_dual_mul_f32 v14, v3, -v19
	v_exp_f32_e32 v11, v11
	s_delay_alu instid0(VALU_DEP_2) | instskip(SKIP_2) | instid1(TRANS32_DEP_2)
	v_cndmask_b32_e32 v9, v12, v9, vcc_lo
	v_cmp_eq_u32_e32 vcc_lo, 0x41, v0
	v_dual_mul_f32 v20, 0x3fb8aa3b, v36 :: v_dual_mul_f32 v21, 0x3fb8aa3b, v37
	v_dual_cndmask_b32 v12, v14, v13, vcc_lo :: v_dual_fma_f32 v13, -v3, v8, v2
	v_mul_f32_e64 v8, v3, -v8
	v_cmp_eq_u32_e32 vcc_lo, 0x42, v0
	v_dual_fma_f32 v15, -v3, v11, v2 :: v_dual_mul_f32 v11, v3, -v11
	s_delay_alu instid0(VALU_DEP_3) | instskip(SKIP_1) | instid1(VALU_DEP_3)
	v_cndmask_b32_e32 v8, v8, v13, vcc_lo
	v_cmp_eq_u32_e32 vcc_lo, 0x43, v0
	v_dual_mul_f32 v14, 0x3fb8aa3b, v32 :: v_dual_cndmask_b32 v11, v11, v15
	s_delay_alu instid0(VALU_DEP_1) | instskip(SKIP_3) | instid1(VALU_DEP_2)
	v_exp_f32_e32 v14, v14
	v_mul_f32_e32 v15, 0x3fb8aa3b, v34
	v_exp_f32_e32 v13, v16
	v_cmp_eq_u32_e32 vcc_lo, 0x44, v0
	v_exp_f32_e32 v15, v15
	s_delay_alu instid0(TRANS32_DEP_3) | instskip(NEXT) | instid1(TRANS32_DEP_2)
	v_dual_fma_f32 v16, -v3, v14, v2 :: v_dual_mul_f32 v14, v3, -v14
	v_fma_f32 v19, -v3, v13, v2
	v_mul_f32_e32 v17, 0x3fb8aa3b, v35
	s_delay_alu instid0(VALU_DEP_3) | instskip(SKIP_1) | instid1(VALU_DEP_3)
	v_dual_mul_f32 v13, v3, -v13 :: v_dual_cndmask_b32 v14, v14, v16, vcc_lo
	v_cmp_eq_u32_e32 vcc_lo, 0x45, v0
	v_exp_f32_e32 v17, v17
	v_dual_fma_f32 v16, -v3, v15, v2 :: v_dual_mul_f32 v15, v3, -v15
	s_delay_alu instid0(VALU_DEP_3) | instskip(SKIP_1) | instid1(TRANS32_DEP_1)
	v_cndmask_b32_e32 v13, v13, v19, vcc_lo
	v_cmp_eq_u32_e32 vcc_lo, 0x46, v0
	v_dual_fma_f32 v19, -v3, v17, v2 :: v_dual_mul_f32 v17, v3, -v17
	s_delay_alu instid0(VALU_DEP_4) | instskip(SKIP_1) | instid1(VALU_DEP_3)
	v_cndmask_b32_e32 v15, v15, v16, vcc_lo
	v_cmp_eq_u32_e32 vcc_lo, 0x47, v0
	v_cndmask_b32_e32 v16, v17, v19, vcc_lo
	v_exp_f32_e32 v17, v20
	v_exp_f32_e32 v19, v21
	s_clause 0x7
	global_store_b32 v1, v9, s[10:11] offset:2235392 scale_offset
	global_store_b32 v1, v12, s[10:11] offset:2270320 scale_offset
	;; [unrolled: 1-line block ×8, first 2 shown]
	v_cmp_eq_u32_e32 vcc_lo, 0x48, v0
	s_wait_xcnt 0x4
	v_dual_fma_f32 v8, -v3, v17, v2 :: v_dual_mul_f32 v11, v3, -v17
	v_mul_f32_e32 v9, 0x3fb8aa3b, v10
	s_wait_xcnt 0x2
	v_dual_fma_f32 v12, -v3, v19, v2 :: v_dual_mul_f32 v13, v3, -v19
	s_delay_alu instid0(VALU_DEP_3) | instskip(NEXT) | instid1(VALU_DEP_3)
	v_cndmask_b32_e32 v8, v11, v8, vcc_lo
	v_exp_f32_e32 v9, v9
	v_cmp_eq_u32_e32 vcc_lo, 0x49, v0
	s_delay_alu instid0(VALU_DEP_3) | instskip(NEXT) | instid1(VALU_DEP_1)
	v_dual_mul_f32 v10, 0x3fb8aa3b, v18 :: v_dual_cndmask_b32 v11, v13, v12
	v_exp_f32_e32 v10, v10
	s_delay_alu instid0(TRANS32_DEP_2) | instskip(SKIP_1) | instid1(TRANS32_DEP_1)
	v_dual_fma_f32 v12, -v3, v9, v2 :: v_dual_mul_f32 v9, v3, -v9
	v_cmp_eq_u32_e32 vcc_lo, 0x4a, v0
	v_dual_fma_f32 v13, -v3, v10, v2 :: v_dual_mul_f32 v10, v3, -v10
	s_delay_alu instid0(VALU_DEP_3) | instskip(SKIP_2) | instid1(VALU_DEP_4)
	v_cndmask_b32_e32 v9, v9, v12, vcc_lo
	v_cmp_eq_u32_e32 vcc_lo, 0x4b, v0
	v_dual_fma_f32 v12, -v3, v7, v2 :: v_dual_mul_f32 v7, v3, -v7
	v_cndmask_b32_e32 v10, v10, v13, vcc_lo
	v_cmp_eq_u32_e32 vcc_lo, 0x4c, v0
	v_mul_f32_e32 v14, 0x3fb8aa3b, v29
	v_dual_fma_f32 v13, -v3, v6, v2 :: v_dual_mul_f32 v6, v3, -v6
	v_cndmask_b32_e32 v7, v7, v12, vcc_lo
	v_cmp_eq_u32_e32 vcc_lo, 0x4d, v0
	s_delay_alu instid0(VALU_DEP_4) | instskip(SKIP_4) | instid1(TRANS32_DEP_1)
	v_exp_f32_e32 v12, v14
	v_dual_fma_f32 v14, -v3, v5, v2 :: v_dual_mul_f32 v5, v3, -v5
	v_dual_cndmask_b32 v6, v6, v13, vcc_lo :: v_dual_fma_f32 v13, -v3, v4, v2
	v_mul_f32_e64 v4, v3, -v4
	v_cmp_eq_u32_e32 vcc_lo, 0x4e, v0
	v_dual_fma_f32 v2, -v3, v12, v2 :: v_dual_mul_f32 v3, v3, -v12
	s_delay_alu instid0(VALU_DEP_3)
	v_cndmask_b32_e32 v4, v4, v13, vcc_lo
	v_cmp_eq_u32_e32 vcc_lo, 0x4f, v0
	v_cndmask_b32_e32 v5, v5, v14, vcc_lo
	v_cmp_eq_u32_e32 vcc_lo, 0x50, v0
	v_cndmask_b32_e32 v0, v3, v2, vcc_lo
	s_clause 0x8
	global_store_b32 v1, v8, s[10:11] offset:2514816 scale_offset
	global_store_b32 v1, v11, s[10:11] offset:2549744 scale_offset
	;; [unrolled: 1-line block ×9, first 2 shown]
.LBB1_4:
	s_sendmsg sendmsg(MSG_DEALLOC_VGPRS)
	s_endpgm
	.section	.rodata,"a",@progbits
	.p2align	6, 0x0
	.amdhsa_kernel _Z8loss_bwdIffEvPKT_PKT0_S5_PKlS2_S7_PS3_
		.amdhsa_group_segment_fixed_size 0
		.amdhsa_private_segment_fixed_size 0
		.amdhsa_kernarg_size 56
		.amdhsa_user_sgpr_count 2
		.amdhsa_user_sgpr_dispatch_ptr 0
		.amdhsa_user_sgpr_queue_ptr 0
		.amdhsa_user_sgpr_kernarg_segment_ptr 1
		.amdhsa_user_sgpr_dispatch_id 0
		.amdhsa_user_sgpr_kernarg_preload_length 0
		.amdhsa_user_sgpr_kernarg_preload_offset 0
		.amdhsa_user_sgpr_private_segment_size 0
		.amdhsa_wavefront_size32 1
		.amdhsa_uses_dynamic_stack 0
		.amdhsa_enable_private_segment 0
		.amdhsa_system_sgpr_workgroup_id_x 1
		.amdhsa_system_sgpr_workgroup_id_y 1
		.amdhsa_system_sgpr_workgroup_id_z 0
		.amdhsa_system_sgpr_workgroup_info 0
		.amdhsa_system_vgpr_workitem_id 0
		.amdhsa_next_free_vgpr 65
		.amdhsa_next_free_sgpr 16
		.amdhsa_named_barrier_count 0
		.amdhsa_reserve_vcc 1
		.amdhsa_float_round_mode_32 0
		.amdhsa_float_round_mode_16_64 0
		.amdhsa_float_denorm_mode_32 3
		.amdhsa_float_denorm_mode_16_64 3
		.amdhsa_fp16_overflow 0
		.amdhsa_memory_ordered 1
		.amdhsa_forward_progress 1
		.amdhsa_inst_pref_size 42
		.amdhsa_round_robin_scheduling 0
		.amdhsa_exception_fp_ieee_invalid_op 0
		.amdhsa_exception_fp_denorm_src 0
		.amdhsa_exception_fp_ieee_div_zero 0
		.amdhsa_exception_fp_ieee_overflow 0
		.amdhsa_exception_fp_ieee_underflow 0
		.amdhsa_exception_fp_ieee_inexact 0
		.amdhsa_exception_int_div_zero 0
	.end_amdhsa_kernel
	.section	.text._Z8loss_bwdIffEvPKT_PKT0_S5_PKlS2_S7_PS3_,"axG",@progbits,_Z8loss_bwdIffEvPKT_PKT0_S5_PKlS2_S7_PS3_,comdat
.Lfunc_end1:
	.size	_Z8loss_bwdIffEvPKT_PKT0_S5_PKlS2_S7_PS3_, .Lfunc_end1-_Z8loss_bwdIffEvPKT_PKT0_S5_PKlS2_S7_PS3_
                                        ; -- End function
	.set _Z8loss_bwdIffEvPKT_PKT0_S5_PKlS2_S7_PS3_.num_vgpr, 65
	.set _Z8loss_bwdIffEvPKT_PKT0_S5_PKlS2_S7_PS3_.num_agpr, 0
	.set _Z8loss_bwdIffEvPKT_PKT0_S5_PKlS2_S7_PS3_.numbered_sgpr, 16
	.set _Z8loss_bwdIffEvPKT_PKT0_S5_PKlS2_S7_PS3_.num_named_barrier, 0
	.set _Z8loss_bwdIffEvPKT_PKT0_S5_PKlS2_S7_PS3_.private_seg_size, 0
	.set _Z8loss_bwdIffEvPKT_PKT0_S5_PKlS2_S7_PS3_.uses_vcc, 1
	.set _Z8loss_bwdIffEvPKT_PKT0_S5_PKlS2_S7_PS3_.uses_flat_scratch, 0
	.set _Z8loss_bwdIffEvPKT_PKT0_S5_PKlS2_S7_PS3_.has_dyn_sized_stack, 0
	.set _Z8loss_bwdIffEvPKT_PKT0_S5_PKlS2_S7_PS3_.has_recursion, 0
	.set _Z8loss_bwdIffEvPKT_PKT0_S5_PKlS2_S7_PS3_.has_indirect_call, 0
	.section	.AMDGPU.csdata,"",@progbits
; Kernel info:
; codeLenInByte = 5308
; TotalNumSgprs: 18
; NumVgprs: 65
; ScratchSize: 0
; MemoryBound: 0
; FloatMode: 240
; IeeeMode: 1
; LDSByteSize: 0 bytes/workgroup (compile time only)
; SGPRBlocks: 0
; VGPRBlocks: 4
; NumSGPRsForWavesPerEU: 18
; NumVGPRsForWavesPerEU: 65
; NamedBarCnt: 0
; Occupancy: 12
; WaveLimiterHint : 1
; COMPUTE_PGM_RSRC2:SCRATCH_EN: 0
; COMPUTE_PGM_RSRC2:USER_SGPR: 2
; COMPUTE_PGM_RSRC2:TRAP_HANDLER: 0
; COMPUTE_PGM_RSRC2:TGID_X_EN: 1
; COMPUTE_PGM_RSRC2:TGID_Y_EN: 1
; COMPUTE_PGM_RSRC2:TGID_Z_EN: 0
; COMPUTE_PGM_RSRC2:TIDIG_COMP_CNT: 0
	.section	.text._Z8loss_bwdIddEvPKT_PKT0_S5_PKlS2_S7_PS3_,"axG",@progbits,_Z8loss_bwdIddEvPKT_PKT0_S5_PKlS2_S7_PS3_,comdat
	.protected	_Z8loss_bwdIddEvPKT_PKT0_S5_PKlS2_S7_PS3_ ; -- Begin function _Z8loss_bwdIddEvPKT_PKT0_S5_PKlS2_S7_PS3_
	.globl	_Z8loss_bwdIddEvPKT_PKT0_S5_PKlS2_S7_PS3_
	.p2align	8
	.type	_Z8loss_bwdIddEvPKT_PKT0_S5_PKlS2_S7_PS3_,@function
_Z8loss_bwdIddEvPKT_PKT0_S5_PKlS2_S7_PS3_: ; @_Z8loss_bwdIddEvPKT_PKT0_S5_PKlS2_S7_PS3_
; %bb.0:
	s_bfe_u32 s2, ttmp6, 0x4000c
	s_and_b32 s3, ttmp6, 15
	s_add_co_i32 s2, s2, 1
	s_delay_alu instid0(SALU_CYCLE_1) | instskip(SKIP_4) | instid1(SALU_CYCLE_1)
	s_mul_i32 s4, ttmp9, s2
	s_getreg_b32 s2, hwreg(HW_REG_IB_STS2, 6, 4)
	s_add_co_i32 s3, s3, s4
	s_cmp_eq_u32 s2, 0
	s_cselect_b32 s3, ttmp9, s3
	v_lshl_add_u32 v0, s3, 6, v0
	s_mov_b32 s3, exec_lo
	s_delay_alu instid0(VALU_DEP_1)
	v_cmpx_gt_i32_e32 0x221c, v0
	s_cbranch_execz .LBB2_4
; %bb.1:
	s_bfe_u32 s3, ttmp6, 0x40010
	s_load_b256 s[4:11], s[0:1], 0x18
	s_add_co_i32 s3, s3, 1
	s_bfe_u32 s12, ttmp6, 0x40004
	s_mul_i32 s3, ttmp7, s3
	s_delay_alu instid0(SALU_CYCLE_1)
	s_add_co_i32 s3, s12, s3
	s_load_b128 s[12:15], s[0:1], 0x0
	s_cmp_eq_u32 s2, 0
	s_cselect_b32 s2, ttmp7, s3
	s_mov_b32 s3, exec_lo
	v_mad_u32 v2, 0x221c, s2, v0
	s_wait_kmcnt 0x0
	s_clause 0x2
	global_load_b64 v[6:7], v2, s[8:9] scale_offset
	global_load_b64 v[0:1], v2, s[4:5] scale_offset
	global_load_b64 v[4:5], v2, s[14:15] scale_offset
	v_ashrrev_i32_e32 v3, 31, v2
	s_wait_loadcnt 0x2
	s_wait_xcnt 0x0
	v_cmpx_ne_u64_e32 0, v[6:7]
	s_cbranch_execz .LBB2_3
; %bb.2:
	s_load_b64 s[0:1], s[0:1], 0x10
	s_wait_kmcnt 0x0
	v_lshl_add_u64 v[6:7], v[2:3], 3, s[0:1]
	global_load_b64 v[6:7], v[6:7], off
	s_wait_loadcnt 0x0
	v_add_f64_e32 v[4:5], v[4:5], v[6:7]
.LBB2_3:
	s_or_b32 exec_lo, exec_lo, s3
	s_wait_loadcnt 0x1
	v_mad_u32 v1, 0xaa8c0, s2, v2
	v_lshl_add_u64 v[2:3], v[2:3], 3, s[6:7]
	v_mov_b64_e32 v[20:21], 0x3e928af3fca7ab0c
	v_mov_b64_e32 v[18:19], 0x3ec71dee623fde64
	;; [unrolled: 1-line block ×4, first 2 shown]
	global_load_b64 v[2:3], v[2:3], off
	v_mov_b64_e32 v[12:13], 0x3f56c16c1852b7b0
	v_mov_b64_e32 v[10:11], 0x3f81111111122322
	;; [unrolled: 1-line block ×3, first 2 shown]
	v_mad_u32 v6, 0x221c, v0, v1
	global_load_b64 v[22:23], v1, s[12:13] scale_offset
	s_wait_loadcnt 0x1
	v_mul_f64_e64 v[4:5], v[2:3], -v[4:5]
	global_load_b64 v[2:3], v6, s[12:13] scale_offset
	s_wait_xcnt 0x0
	v_mov_b64_e32 v[6:7], 0x3fc5555555555511
	s_wait_loadcnt 0x1
	v_cmp_nlt_f64_e32 vcc_lo, 0x40900000, v[22:23]
	v_cmp_ngt_f64_e64 s0, 0xc090cc00, v[22:23]
	v_cvt_f32_f64_e32 v28, v[4:5]
	s_wait_loadcnt 0x0
	v_mul_f64_e32 v[2:3], v[4:5], v[2:3]
	v_mul_f64_e32 v[4:5], 0x3ff71547652b82fe, v[22:23]
	s_delay_alu instid0(VALU_DEP_1) | instskip(NEXT) | instid1(VALU_DEP_1)
	v_rndne_f64_e32 v[24:25], v[4:5]
	v_fmamk_f64 v[26:27], v[24:25], 0xbfe62e42fefa39ef, v[22:23]
	s_delay_alu instid0(VALU_DEP_1) | instskip(SKIP_1) | instid1(VALU_DEP_2)
	v_fmac_f64_e32 v[26:27], 0xbc7abc9e3b39803f, v[24:25]
	v_cvt_i32_f64_e32 v24, v[24:25]
	v_fmamk_f64 v[4:5], v[26:27], 0x3e5ade156a5dcb37, v[20:21]
	s_delay_alu instid0(VALU_DEP_1) | instskip(NEXT) | instid1(VALU_DEP_1)
	v_fmaak_f64 v[4:5], v[26:27], v[4:5], 0x3ec71dee623fde64
	v_fmaak_f64 v[4:5], v[26:27], v[4:5], 0x3efa01997c89e6b0
	s_delay_alu instid0(VALU_DEP_1) | instskip(NEXT) | instid1(VALU_DEP_1)
	v_fmaak_f64 v[4:5], v[26:27], v[4:5], 0x3f2a01a014761f6e
	v_fmaak_f64 v[4:5], v[26:27], v[4:5], 0x3f56c16c1852b7b0
	s_delay_alu instid0(VALU_DEP_1) | instskip(NEXT) | instid1(VALU_DEP_1)
	v_fmaak_f64 v[4:5], v[26:27], v[4:5], 0x3f81111111122322
	v_fmaak_f64 v[4:5], v[26:27], v[4:5], 0x3fa55555555502a1
	s_delay_alu instid0(VALU_DEP_1) | instskip(SKIP_1) | instid1(VALU_DEP_2)
	v_fmaak_f64 v[30:31], v[26:27], v[4:5], 0x3fc5555555555511
	v_mov_b64_e32 v[4:5], 0x3fe000000000000b
	v_fmaak_f64 v[30:31], v[26:27], v[30:31], 0x3fe000000000000b
	s_delay_alu instid0(VALU_DEP_1) | instskip(NEXT) | instid1(VALU_DEP_1)
	v_fma_f64 v[30:31], v[26:27], v[30:31], 1.0
	v_fma_f64 v[26:27], v[26:27], v[30:31], 1.0
	s_delay_alu instid0(VALU_DEP_1) | instskip(NEXT) | instid1(VALU_DEP_1)
	v_ldexp_f64 v[24:25], v[26:27], v24
	v_cndmask_b32_e32 v25, 0x7ff00000, v25, vcc_lo
	s_and_b32 vcc_lo, s0, vcc_lo
	s_delay_alu instid0(VALU_DEP_2) | instskip(SKIP_1) | instid1(VALU_DEP_3)
	v_cndmask_b32_e32 v22, 0, v24, vcc_lo
	v_cvt_f32_f64_e32 v2, v[2:3]
	v_cndmask_b32_e64 v23, 0, v25, s0
	v_cmp_eq_u32_e32 vcc_lo, 0, v0
	s_delay_alu instid0(VALU_DEP_3) | instskip(NEXT) | instid1(VALU_DEP_1)
	v_cvt_f64_f32_e32 v[2:3], v2
	v_mul_f64_e32 v[22:23], v[22:23], v[2:3]
	s_delay_alu instid0(VALU_DEP_1) | instskip(NEXT) | instid1(VALU_DEP_1)
	v_cvt_f32_f64_e32 v22, v[22:23]
	v_sub_f32_e32 v23, v28, v22
	s_delay_alu instid0(VALU_DEP_1) | instskip(NEXT) | instid1(VALU_DEP_1)
	v_cndmask_b32_e64 v22, -v22, v23, vcc_lo
	v_cvt_f64_f32_e32 v[22:23], v22
	s_clause 0x1
	global_store_b64 v1, v[22:23], s[10:11] scale_offset
	global_load_b64 v[22:23], v1, s[12:13] offset:69856 scale_offset
	s_wait_loadcnt 0x0
	v_mul_f64_e32 v[24:25], 0x3ff71547652b82fe, v[22:23]
	v_cmp_nlt_f64_e32 vcc_lo, 0x40900000, v[22:23]
	v_cmp_ngt_f64_e64 s0, 0xc090cc00, v[22:23]
	s_delay_alu instid0(VALU_DEP_3) | instskip(NEXT) | instid1(VALU_DEP_1)
	v_rndne_f64_e32 v[24:25], v[24:25]
	v_fmamk_f64 v[26:27], v[24:25], 0xbfe62e42fefa39ef, v[22:23]
	s_delay_alu instid0(VALU_DEP_1) | instskip(SKIP_1) | instid1(VALU_DEP_2)
	v_fmac_f64_e32 v[26:27], 0xbc7abc9e3b39803f, v[24:25]
	v_cvt_i32_f64_e32 v24, v[24:25]
	v_fmamk_f64 v[30:31], v[26:27], 0x3e5ade156a5dcb37, v[20:21]
	s_delay_alu instid0(VALU_DEP_1) | instskip(NEXT) | instid1(VALU_DEP_1)
	v_fmaak_f64 v[30:31], v[26:27], v[30:31], 0x3ec71dee623fde64
	v_fmaak_f64 v[30:31], v[26:27], v[30:31], 0x3efa01997c89e6b0
	s_delay_alu instid0(VALU_DEP_1) | instskip(NEXT) | instid1(VALU_DEP_1)
	v_fmaak_f64 v[30:31], v[26:27], v[30:31], 0x3f2a01a014761f6e
	v_fmaak_f64 v[30:31], v[26:27], v[30:31], 0x3f56c16c1852b7b0
	s_delay_alu instid0(VALU_DEP_1) | instskip(NEXT) | instid1(VALU_DEP_1)
	v_fmaak_f64 v[30:31], v[26:27], v[30:31], 0x3f81111111122322
	v_fmaak_f64 v[30:31], v[26:27], v[30:31], 0x3fa55555555502a1
	s_delay_alu instid0(VALU_DEP_1) | instskip(NEXT) | instid1(VALU_DEP_1)
	v_fmaak_f64 v[30:31], v[26:27], v[30:31], 0x3fc5555555555511
	v_fmaak_f64 v[30:31], v[26:27], v[30:31], 0x3fe000000000000b
	s_delay_alu instid0(VALU_DEP_1) | instskip(NEXT) | instid1(VALU_DEP_1)
	v_fma_f64 v[30:31], v[26:27], v[30:31], 1.0
	v_fma_f64 v[26:27], v[26:27], v[30:31], 1.0
	s_delay_alu instid0(VALU_DEP_1) | instskip(NEXT) | instid1(VALU_DEP_1)
	v_ldexp_f64 v[24:25], v[26:27], v24
	v_cndmask_b32_e32 v25, 0x7ff00000, v25, vcc_lo
	s_and_b32 vcc_lo, s0, vcc_lo
	s_delay_alu instid0(VALU_DEP_2) | instskip(SKIP_1) | instid1(VALU_DEP_3)
	v_cndmask_b32_e32 v22, 0, v24, vcc_lo
	v_cmp_eq_u32_e32 vcc_lo, 1, v0
	v_cndmask_b32_e64 v23, 0, v25, s0
	s_delay_alu instid0(VALU_DEP_1) | instskip(NEXT) | instid1(VALU_DEP_1)
	v_mul_f64_e32 v[22:23], v[22:23], v[2:3]
	v_cvt_f32_f64_e32 v22, v[22:23]
	s_delay_alu instid0(VALU_DEP_1) | instskip(NEXT) | instid1(VALU_DEP_1)
	v_sub_f32_e32 v23, v28, v22
	v_cndmask_b32_e64 v22, -v22, v23, vcc_lo
	s_delay_alu instid0(VALU_DEP_1)
	v_cvt_f64_f32_e32 v[22:23], v22
	s_clause 0x1
	global_store_b64 v1, v[22:23], s[10:11] offset:69856 scale_offset
	global_load_b64 v[22:23], v1, s[12:13] offset:139712 scale_offset
	s_wait_loadcnt 0x0
	v_mul_f64_e32 v[24:25], 0x3ff71547652b82fe, v[22:23]
	v_cmp_nlt_f64_e32 vcc_lo, 0x40900000, v[22:23]
	v_cmp_ngt_f64_e64 s0, 0xc090cc00, v[22:23]
	s_delay_alu instid0(VALU_DEP_3) | instskip(NEXT) | instid1(VALU_DEP_1)
	v_rndne_f64_e32 v[24:25], v[24:25]
	v_fmamk_f64 v[26:27], v[24:25], 0xbfe62e42fefa39ef, v[22:23]
	s_delay_alu instid0(VALU_DEP_1) | instskip(SKIP_1) | instid1(VALU_DEP_2)
	v_fmac_f64_e32 v[26:27], 0xbc7abc9e3b39803f, v[24:25]
	v_cvt_i32_f64_e32 v24, v[24:25]
	v_fmamk_f64 v[30:31], v[26:27], 0x3e5ade156a5dcb37, v[20:21]
	s_delay_alu instid0(VALU_DEP_1) | instskip(NEXT) | instid1(VALU_DEP_1)
	v_fmaak_f64 v[30:31], v[26:27], v[30:31], 0x3ec71dee623fde64
	v_fmaak_f64 v[30:31], v[26:27], v[30:31], 0x3efa01997c89e6b0
	s_delay_alu instid0(VALU_DEP_1) | instskip(NEXT) | instid1(VALU_DEP_1)
	v_fmaak_f64 v[30:31], v[26:27], v[30:31], 0x3f2a01a014761f6e
	v_fmaak_f64 v[30:31], v[26:27], v[30:31], 0x3f56c16c1852b7b0
	s_delay_alu instid0(VALU_DEP_1) | instskip(NEXT) | instid1(VALU_DEP_1)
	v_fmaak_f64 v[30:31], v[26:27], v[30:31], 0x3f81111111122322
	v_fmaak_f64 v[30:31], v[26:27], v[30:31], 0x3fa55555555502a1
	s_delay_alu instid0(VALU_DEP_1) | instskip(NEXT) | instid1(VALU_DEP_1)
	v_fmaak_f64 v[30:31], v[26:27], v[30:31], 0x3fc5555555555511
	v_fmaak_f64 v[30:31], v[26:27], v[30:31], 0x3fe000000000000b
	s_delay_alu instid0(VALU_DEP_1) | instskip(NEXT) | instid1(VALU_DEP_1)
	v_fma_f64 v[30:31], v[26:27], v[30:31], 1.0
	v_fma_f64 v[26:27], v[26:27], v[30:31], 1.0
	s_delay_alu instid0(VALU_DEP_1) | instskip(NEXT) | instid1(VALU_DEP_1)
	v_ldexp_f64 v[24:25], v[26:27], v24
	v_cndmask_b32_e32 v25, 0x7ff00000, v25, vcc_lo
	s_and_b32 vcc_lo, s0, vcc_lo
	s_delay_alu instid0(VALU_DEP_2) | instskip(SKIP_1) | instid1(VALU_DEP_3)
	v_cndmask_b32_e32 v22, 0, v24, vcc_lo
	v_cmp_eq_u32_e32 vcc_lo, 2, v0
	v_cndmask_b32_e64 v23, 0, v25, s0
	s_delay_alu instid0(VALU_DEP_1) | instskip(NEXT) | instid1(VALU_DEP_1)
	v_mul_f64_e32 v[22:23], v[22:23], v[2:3]
	v_cvt_f32_f64_e32 v22, v[22:23]
	s_delay_alu instid0(VALU_DEP_1) | instskip(NEXT) | instid1(VALU_DEP_1)
	v_sub_f32_e32 v23, v28, v22
	v_cndmask_b32_e64 v22, -v22, v23, vcc_lo
	s_delay_alu instid0(VALU_DEP_1)
	v_cvt_f64_f32_e32 v[22:23], v22
	s_clause 0x1
	global_store_b64 v1, v[22:23], s[10:11] offset:139712 scale_offset
	;; [unrolled: 45-line block ×79, first 2 shown]
	global_load_b64 v[22:23], v1, s[12:13] offset:5588480 scale_offset
	s_wait_loadcnt 0x0
	v_mul_f64_e32 v[24:25], 0x3ff71547652b82fe, v[22:23]
	v_cmp_nlt_f64_e32 vcc_lo, 0x40900000, v[22:23]
	v_cmp_ngt_f64_e64 s0, 0xc090cc00, v[22:23]
	s_delay_alu instid0(VALU_DEP_3) | instskip(NEXT) | instid1(VALU_DEP_1)
	v_rndne_f64_e32 v[24:25], v[24:25]
	v_fmamk_f64 v[26:27], v[24:25], 0xbfe62e42fefa39ef, v[22:23]
	s_delay_alu instid0(VALU_DEP_1) | instskip(NEXT) | instid1(VALU_DEP_1)
	v_fmac_f64_e32 v[26:27], 0xbc7abc9e3b39803f, v[24:25]
	v_fmac_f64_e32 v[20:21], 0x3e5ade156a5dcb37, v[26:27]
	s_delay_alu instid0(VALU_DEP_1) | instskip(NEXT) | instid1(VALU_DEP_1)
	v_fmac_f64_e32 v[18:19], v[26:27], v[20:21]
	v_fmac_f64_e32 v[16:17], v[26:27], v[18:19]
	;; [unrolled: 3-line block ×5, first 2 shown]
	v_cvt_i32_f64_e32 v6, v[24:25]
	s_delay_alu instid0(VALU_DEP_2) | instskip(NEXT) | instid1(VALU_DEP_1)
	v_fma_f64 v[4:5], v[26:27], v[4:5], 1.0
	v_fma_f64 v[4:5], v[26:27], v[4:5], 1.0
	s_delay_alu instid0(VALU_DEP_1) | instskip(NEXT) | instid1(VALU_DEP_1)
	v_ldexp_f64 v[4:5], v[4:5], v6
	v_cndmask_b32_e32 v5, 0x7ff00000, v5, vcc_lo
	s_and_b32 vcc_lo, s0, vcc_lo
	s_delay_alu instid0(VALU_DEP_2) | instskip(SKIP_1) | instid1(VALU_DEP_3)
	v_cndmask_b32_e32 v4, 0, v4, vcc_lo
	v_cmp_eq_u32_e32 vcc_lo, 0x50, v0
	v_cndmask_b32_e64 v5, 0, v5, s0
	s_delay_alu instid0(VALU_DEP_1) | instskip(NEXT) | instid1(VALU_DEP_1)
	v_mul_f64_e32 v[2:3], v[4:5], v[2:3]
	v_cvt_f32_f64_e32 v2, v[2:3]
	s_delay_alu instid0(VALU_DEP_1) | instskip(NEXT) | instid1(VALU_DEP_1)
	v_sub_f32_e32 v0, v28, v2
	v_cndmask_b32_e64 v0, -v2, v0, vcc_lo
	s_delay_alu instid0(VALU_DEP_1)
	v_cvt_f64_f32_e32 v[2:3], v0
	global_store_b64 v1, v[2:3], s[10:11] offset:5588480 scale_offset
.LBB2_4:
	s_endpgm
	.section	.rodata,"a",@progbits
	.p2align	6, 0x0
	.amdhsa_kernel _Z8loss_bwdIddEvPKT_PKT0_S5_PKlS2_S7_PS3_
		.amdhsa_group_segment_fixed_size 0
		.amdhsa_private_segment_fixed_size 0
		.amdhsa_kernarg_size 56
		.amdhsa_user_sgpr_count 2
		.amdhsa_user_sgpr_dispatch_ptr 0
		.amdhsa_user_sgpr_queue_ptr 0
		.amdhsa_user_sgpr_kernarg_segment_ptr 1
		.amdhsa_user_sgpr_dispatch_id 0
		.amdhsa_user_sgpr_kernarg_preload_length 0
		.amdhsa_user_sgpr_kernarg_preload_offset 0
		.amdhsa_user_sgpr_private_segment_size 0
		.amdhsa_wavefront_size32 1
		.amdhsa_uses_dynamic_stack 0
		.amdhsa_enable_private_segment 0
		.amdhsa_system_sgpr_workgroup_id_x 1
		.amdhsa_system_sgpr_workgroup_id_y 1
		.amdhsa_system_sgpr_workgroup_id_z 0
		.amdhsa_system_sgpr_workgroup_info 0
		.amdhsa_system_vgpr_workitem_id 0
		.amdhsa_next_free_vgpr 32
		.amdhsa_next_free_sgpr 16
		.amdhsa_named_barrier_count 0
		.amdhsa_reserve_vcc 1
		.amdhsa_float_round_mode_32 0
		.amdhsa_float_round_mode_16_64 0
		.amdhsa_float_denorm_mode_32 3
		.amdhsa_float_denorm_mode_16_64 3
		.amdhsa_fp16_overflow 0
		.amdhsa_memory_ordered 1
		.amdhsa_forward_progress 1
		.amdhsa_inst_pref_size 212
		.amdhsa_round_robin_scheduling 0
		.amdhsa_exception_fp_ieee_invalid_op 0
		.amdhsa_exception_fp_denorm_src 0
		.amdhsa_exception_fp_ieee_div_zero 0
		.amdhsa_exception_fp_ieee_overflow 0
		.amdhsa_exception_fp_ieee_underflow 0
		.amdhsa_exception_fp_ieee_inexact 0
		.amdhsa_exception_int_div_zero 0
	.end_amdhsa_kernel
	.section	.text._Z8loss_bwdIddEvPKT_PKT0_S5_PKlS2_S7_PS3_,"axG",@progbits,_Z8loss_bwdIddEvPKT_PKT0_S5_PKlS2_S7_PS3_,comdat
.Lfunc_end2:
	.size	_Z8loss_bwdIddEvPKT_PKT0_S5_PKlS2_S7_PS3_, .Lfunc_end2-_Z8loss_bwdIddEvPKT_PKT0_S5_PKlS2_S7_PS3_
                                        ; -- End function
	.set _Z8loss_bwdIddEvPKT_PKT0_S5_PKlS2_S7_PS3_.num_vgpr, 32
	.set _Z8loss_bwdIddEvPKT_PKT0_S5_PKlS2_S7_PS3_.num_agpr, 0
	.set _Z8loss_bwdIddEvPKT_PKT0_S5_PKlS2_S7_PS3_.numbered_sgpr, 16
	.set _Z8loss_bwdIddEvPKT_PKT0_S5_PKlS2_S7_PS3_.num_named_barrier, 0
	.set _Z8loss_bwdIddEvPKT_PKT0_S5_PKlS2_S7_PS3_.private_seg_size, 0
	.set _Z8loss_bwdIddEvPKT_PKT0_S5_PKlS2_S7_PS3_.uses_vcc, 1
	.set _Z8loss_bwdIddEvPKT_PKT0_S5_PKlS2_S7_PS3_.uses_flat_scratch, 0
	.set _Z8loss_bwdIddEvPKT_PKT0_S5_PKlS2_S7_PS3_.has_dyn_sized_stack, 0
	.set _Z8loss_bwdIddEvPKT_PKT0_S5_PKlS2_S7_PS3_.has_recursion, 0
	.set _Z8loss_bwdIddEvPKT_PKT0_S5_PKlS2_S7_PS3_.has_indirect_call, 0
	.section	.AMDGPU.csdata,"",@progbits
; Kernel info:
; codeLenInByte = 27020
; TotalNumSgprs: 18
; NumVgprs: 32
; ScratchSize: 0
; MemoryBound: 0
; FloatMode: 240
; IeeeMode: 1
; LDSByteSize: 0 bytes/workgroup (compile time only)
; SGPRBlocks: 0
; VGPRBlocks: 1
; NumSGPRsForWavesPerEU: 18
; NumVGPRsForWavesPerEU: 32
; NamedBarCnt: 0
; Occupancy: 16
; WaveLimiterHint : 1
; COMPUTE_PGM_RSRC2:SCRATCH_EN: 0
; COMPUTE_PGM_RSRC2:USER_SGPR: 2
; COMPUTE_PGM_RSRC2:TRAP_HANDLER: 0
; COMPUTE_PGM_RSRC2:TGID_X_EN: 1
; COMPUTE_PGM_RSRC2:TGID_Y_EN: 1
; COMPUTE_PGM_RSRC2:TGID_Z_EN: 0
; COMPUTE_PGM_RSRC2:TIDIG_COMP_CNT: 0
	.text
	.p2alignl 7, 3214868480
	.fill 96, 4, 3214868480
	.section	.AMDGPU.gpr_maximums,"",@progbits
	.set amdgpu.max_num_vgpr, 0
	.set amdgpu.max_num_agpr, 0
	.set amdgpu.max_num_sgpr, 0
	.text
	.type	__hip_cuid_d620b5a4ab1aaf46,@object ; @__hip_cuid_d620b5a4ab1aaf46
	.section	.bss,"aw",@nobits
	.globl	__hip_cuid_d620b5a4ab1aaf46
__hip_cuid_d620b5a4ab1aaf46:
	.byte	0                               ; 0x0
	.size	__hip_cuid_d620b5a4ab1aaf46, 1

	.ident	"AMD clang version 22.0.0git (https://github.com/RadeonOpenCompute/llvm-project roc-7.2.4 26084 f58b06dce1f9c15707c5f808fd002e18c2accf7e)"
	.section	".note.GNU-stack","",@progbits
	.addrsig
	.addrsig_sym __hip_cuid_d620b5a4ab1aaf46
	.amdgpu_metadata
---
amdhsa.kernels:
  - .args:
      - .actual_access:  read_only
        .address_space:  global
        .offset:         0
        .size:           8
        .value_kind:     global_buffer
      - .actual_access:  read_only
        .address_space:  global
        .offset:         8
        .size:           8
        .value_kind:     global_buffer
      - .actual_access:  read_only
        .address_space:  global
        .offset:         16
        .size:           8
        .value_kind:     global_buffer
      - .actual_access:  read_only
        .address_space:  global
        .offset:         24
        .size:           8
        .value_kind:     global_buffer
      - .actual_access:  read_only
        .address_space:  global
        .offset:         32
        .size:           8
        .value_kind:     global_buffer
      - .actual_access:  read_only
        .address_space:  global
        .offset:         40
        .size:           8
        .value_kind:     global_buffer
      - .actual_access:  write_only
        .address_space:  global
        .offset:         48
        .size:           8
        .value_kind:     global_buffer
    .group_segment_fixed_size: 0
    .kernarg_segment_align: 8
    .kernarg_segment_size: 56
    .language:       OpenCL C
    .language_version:
      - 2
      - 0
    .max_flat_workgroup_size: 1024
    .name:           _Z8loss_bwdI6__halfS0_EvPKT_PKT0_S6_PKlS3_S8_PS4_
    .private_segment_fixed_size: 0
    .sgpr_count:     18
    .sgpr_spill_count: 0
    .symbol:         _Z8loss_bwdI6__halfS0_EvPKT_PKT0_S6_PKlS3_S8_PS4_.kd
    .uniform_work_group_size: 1
    .uses_dynamic_stack: false
    .vgpr_count:     62
    .vgpr_spill_count: 0
    .wavefront_size: 32
  - .args:
      - .actual_access:  read_only
        .address_space:  global
        .offset:         0
        .size:           8
        .value_kind:     global_buffer
      - .actual_access:  read_only
        .address_space:  global
        .offset:         8
        .size:           8
        .value_kind:     global_buffer
      - .actual_access:  read_only
        .address_space:  global
        .offset:         16
        .size:           8
        .value_kind:     global_buffer
      - .actual_access:  read_only
        .address_space:  global
        .offset:         24
        .size:           8
        .value_kind:     global_buffer
      - .actual_access:  read_only
        .address_space:  global
        .offset:         32
        .size:           8
        .value_kind:     global_buffer
      - .actual_access:  read_only
        .address_space:  global
        .offset:         40
        .size:           8
        .value_kind:     global_buffer
      - .actual_access:  write_only
        .address_space:  global
        .offset:         48
        .size:           8
        .value_kind:     global_buffer
    .group_segment_fixed_size: 0
    .kernarg_segment_align: 8
    .kernarg_segment_size: 56
    .language:       OpenCL C
    .language_version:
      - 2
      - 0
    .max_flat_workgroup_size: 1024
    .name:           _Z8loss_bwdIffEvPKT_PKT0_S5_PKlS2_S7_PS3_
    .private_segment_fixed_size: 0
    .sgpr_count:     18
    .sgpr_spill_count: 0
    .symbol:         _Z8loss_bwdIffEvPKT_PKT0_S5_PKlS2_S7_PS3_.kd
    .uniform_work_group_size: 1
    .uses_dynamic_stack: false
    .vgpr_count:     65
    .vgpr_spill_count: 0
    .wavefront_size: 32
  - .args:
      - .actual_access:  read_only
        .address_space:  global
        .offset:         0
        .size:           8
        .value_kind:     global_buffer
      - .actual_access:  read_only
        .address_space:  global
        .offset:         8
        .size:           8
        .value_kind:     global_buffer
      - .actual_access:  read_only
        .address_space:  global
        .offset:         16
        .size:           8
        .value_kind:     global_buffer
      - .actual_access:  read_only
        .address_space:  global
        .offset:         24
        .size:           8
        .value_kind:     global_buffer
      - .actual_access:  read_only
        .address_space:  global
        .offset:         32
        .size:           8
        .value_kind:     global_buffer
      - .actual_access:  read_only
        .address_space:  global
        .offset:         40
        .size:           8
        .value_kind:     global_buffer
      - .actual_access:  write_only
        .address_space:  global
        .offset:         48
        .size:           8
        .value_kind:     global_buffer
    .group_segment_fixed_size: 0
    .kernarg_segment_align: 8
    .kernarg_segment_size: 56
    .language:       OpenCL C
    .language_version:
      - 2
      - 0
    .max_flat_workgroup_size: 1024
    .name:           _Z8loss_bwdIddEvPKT_PKT0_S5_PKlS2_S7_PS3_
    .private_segment_fixed_size: 0
    .sgpr_count:     18
    .sgpr_spill_count: 0
    .symbol:         _Z8loss_bwdIddEvPKT_PKT0_S5_PKlS2_S7_PS3_.kd
    .uniform_work_group_size: 1
    .uses_dynamic_stack: false
    .vgpr_count:     32
    .vgpr_spill_count: 0
    .wavefront_size: 32
amdhsa.target:   amdgcn-amd-amdhsa--gfx1250
amdhsa.version:
  - 1
  - 2
...

	.end_amdgpu_metadata
